;; amdgpu-corpus repo=ROCm/rocFFT kind=compiled arch=gfx1030 opt=O3
	.text
	.amdgcn_target "amdgcn-amd-amdhsa--gfx1030"
	.amdhsa_code_object_version 6
	.protected	bluestein_single_back_len1088_dim1_half_op_CI_CI ; -- Begin function bluestein_single_back_len1088_dim1_half_op_CI_CI
	.globl	bluestein_single_back_len1088_dim1_half_op_CI_CI
	.p2align	8
	.type	bluestein_single_back_len1088_dim1_half_op_CI_CI,@function
bluestein_single_back_len1088_dim1_half_op_CI_CI: ; @bluestein_single_back_len1088_dim1_half_op_CI_CI
; %bb.0:
	s_load_dwordx4 s[0:3], s[4:5], 0x28
	v_mul_u32_u24_e32 v1, 0x3c4, v0
	v_lshrrev_b32_e32 v1, 16, v1
	v_mad_u64_u32 v[21:22], null, s6, 3, v[1:2]
	v_mov_b32_e32 v22, 0
                                        ; kill: def $vgpr2 killed $sgpr0 killed $exec
	s_waitcnt lgkmcnt(0)
	v_cmp_gt_u64_e32 vcc_lo, s[0:1], v[21:22]
	s_and_saveexec_b32 s0, vcc_lo
	s_cbranch_execz .LBB0_15
; %bb.1:
	v_mul_hi_u32 v2, 0xaaaaaaab, v21
	v_mul_lo_u16 v1, 0x44, v1
	s_clause 0x1
	s_load_dwordx2 s[12:13], s[4:5], 0x0
	s_load_dwordx2 s[14:15], s[4:5], 0x38
	v_sub_nc_u16 v0, v0, v1
	v_lshrrev_b32_e32 v1, 1, v2
	v_and_b32_e32 v56, 0xffff, v0
	v_cmp_gt_u16_e32 vcc_lo, 64, v0
	v_lshl_add_u32 v0, v1, 1, v1
	v_lshlrev_b32_e32 v48, 2, v56
	v_or_b32_e32 v54, 64, v56
	v_sub_nc_u32_e32 v0, v21, v0
	v_or_b32_e32 v53, 0x80, v56
	v_or_b32_e32 v52, 0xc0, v56
	;; [unrolled: 1-line block ×4, first 2 shown]
	v_mul_u32_u24_e32 v55, 0x440, v0
	v_or_b32_e32 v49, 0x180, v56
	v_or_b32_e32 v47, 0x1c0, v56
	;; [unrolled: 1-line block ×11, first 2 shown]
	v_lshlrev_b32_e32 v57, 2, v0
	v_or_b32_e32 v38, 0x400, v56
	s_and_saveexec_b32 s1, vcc_lo
	s_cbranch_execz .LBB0_3
; %bb.2:
	s_load_dwordx2 s[6:7], s[4:5], 0x18
	v_lshlrev_b32_e32 v60, 2, v43
	s_waitcnt lgkmcnt(0)
	s_load_dwordx4 s[8:11], s[6:7], 0x0
	s_waitcnt lgkmcnt(0)
	v_mad_u64_u32 v[0:1], null, s10, v21, 0
	v_mad_u64_u32 v[2:3], null, s8, v56, 0
	;; [unrolled: 1-line block ×10, first 2 shown]
	v_mov_b32_e32 v1, v18
	v_mad_u64_u32 v[23:24], null, s9, v53, v[7:8]
	v_mad_u64_u32 v[24:25], null, s9, v52, v[9:10]
	;; [unrolled: 1-line block ×4, first 2 shown]
	v_mov_b32_e32 v3, v19
	v_lshlrev_b64 v[0:1], 2, v[0:1]
	v_mad_u64_u32 v[16:17], null, s8, v47, 0
	v_mov_b32_e32 v5, v22
	v_lshlrev_b64 v[2:3], 2, v[2:3]
	v_mov_b32_e32 v7, v23
	v_mov_b32_e32 v9, v24
	v_add_co_u32 v24, s0, s2, v0
	v_mad_u64_u32 v[26:27], null, s9, v50, v[13:14]
	v_mov_b32_e32 v11, v25
	v_lshlrev_b64 v[4:5], 2, v[4:5]
	v_add_co_ci_u32_e64 v25, s0, s3, v1, s0
	v_mad_u64_u32 v[27:28], null, s9, v49, v[15:16]
	v_lshlrev_b64 v[6:7], 2, v[6:7]
	v_add_co_u32 v2, s0, v24, v2
	v_add_co_ci_u32_e64 v3, s0, v25, v3, s0
	v_lshlrev_b64 v[8:9], 2, v[8:9]
	v_add_co_u32 v4, s0, v24, v4
	v_mov_b32_e32 v13, v26
	v_add_co_ci_u32_e64 v5, s0, v25, v5, s0
	v_lshlrev_b64 v[0:1], 2, v[10:11]
	v_add_co_u32 v6, s0, v24, v6
	v_mov_b32_e32 v15, v27
	v_add_co_ci_u32_e64 v7, s0, v25, v7, s0
	v_add_co_u32 v8, s0, v24, v8
	v_lshlrev_b64 v[10:11], 2, v[12:13]
	v_mad_u64_u32 v[12:13], null, s9, v47, v[17:18]
	v_mad_u64_u32 v[18:19], null, s8, v46, 0
	v_add_co_ci_u32_e64 v9, s0, v25, v9, s0
	v_add_co_u32 v0, s0, v24, v0
	v_lshlrev_b64 v[13:14], 2, v[14:15]
	v_add_co_ci_u32_e64 v1, s0, v25, v1, s0
	v_add_co_u32 v10, s0, v24, v10
	v_add_co_ci_u32_e64 v11, s0, v25, v11, s0
	v_mov_b32_e32 v17, v12
	v_mov_b32_e32 v12, v19
	v_add_co_u32 v13, s0, v24, v13
	v_mad_u64_u32 v[22:23], null, s8, v45, 0
	v_lshlrev_b64 v[15:16], 2, v[16:17]
	v_mad_u64_u32 v[19:20], null, s9, v46, v[12:13]
	v_add_co_ci_u32_e64 v14, s0, v25, v14, s0
	s_clause 0x6
	global_load_dword v26, v48, s[12:13]
	global_load_dword v27, v48, s[12:13] offset:256
	global_load_dword v28, v48, s[12:13] offset:512
	;; [unrolled: 1-line block ×6, first 2 shown]
	v_mov_b32_e32 v12, v23
	v_add_co_u32 v15, s0, v24, v15
	v_lshlrev_b64 v[17:18], 2, v[18:19]
	v_add_co_ci_u32_e64 v16, s0, v25, v16, s0
	v_mad_u64_u32 v[19:20], null, s9, v45, v[12:13]
	s_clause 0x7
	global_load_dword v20, v[2:3], off
	global_load_dword v33, v[4:5], off
	;; [unrolled: 1-line block ×8, first 2 shown]
	v_add_co_u32 v2, s0, v24, v17
	v_add_co_ci_u32_e64 v3, s0, v25, v18, s0
	v_mad_u64_u32 v[0:1], null, s8, v44, 0
	v_mov_b32_e32 v23, v19
	global_load_dword v16, v48, s[12:13] offset:1792
	global_load_dword v17, v[2:3], off
	v_mad_u64_u32 v[4:5], null, s8, v43, 0
	v_mad_u64_u32 v[8:9], null, s8, v40, 0
	v_lshlrev_b64 v[2:3], 2, v[22:23]
	v_lshlrev_b32_e32 v13, 2, v45
	v_mad_u64_u32 v[6:7], null, s9, v44, v[1:2]
	v_lshlrev_b32_e32 v1, 2, v46
	v_add_co_u32 v2, s0, v24, v2
	v_add_co_ci_u32_e64 v3, s0, v25, v3, s0
	global_load_dword v18, v1, s[12:13]
	v_mov_b32_e32 v1, v6
	v_mad_u64_u32 v[5:6], null, s9, v43, v[5:6]
	global_load_dword v19, v[2:3], off
	v_mad_u64_u32 v[2:3], null, s8, v42, 0
	v_lshlrev_b64 v[0:1], 2, v[0:1]
	v_mad_u64_u32 v[6:7], null, s8, v41, 0
	v_lshlrev_b64 v[4:5], 2, v[4:5]
	v_add_co_u32 v0, s0, v24, v0
	v_add_co_ci_u32_e64 v1, s0, v25, v1, s0
	v_add_co_u32 v4, s0, v24, v4
	global_load_dword v22, v13, s[12:13]
	global_load_dword v23, v[0:1], off
	v_add_co_ci_u32_e64 v5, s0, v25, v5, s0
	v_mad_u64_u32 v[10:11], null, s9, v42, v[3:4]
	v_mad_u64_u32 v[11:12], null, s9, v41, v[7:8]
	v_mov_b32_e32 v3, v9
	v_lshlrev_b32_e32 v9, 2, v44
	global_load_dword v58, v9, s[12:13]
	global_load_dword v59, v[4:5], off
	v_mad_u64_u32 v[0:1], null, s9, v40, v[3:4]
	v_mov_b32_e32 v3, v10
	v_mov_b32_e32 v7, v11
	v_mad_u64_u32 v[10:11], null, s8, v38, 0
	v_lshlrev_b64 v[1:2], 2, v[2:3]
	v_lshlrev_b64 v[3:4], 2, v[6:7]
	v_mad_u64_u32 v[5:6], null, s8, v39, 0
	v_mov_b32_e32 v9, v0
	v_add_co_u32 v0, s0, v24, v1
	v_add_co_ci_u32_e64 v1, s0, v25, v2, s0
	v_mov_b32_e32 v2, v6
	v_add_co_u32 v3, s0, v24, v3
	v_lshlrev_b64 v[7:8], 2, v[8:9]
	v_mov_b32_e32 v6, v11
	v_add_co_ci_u32_e64 v4, s0, v25, v4, s0
	v_mad_u64_u32 v[11:12], null, s9, v39, v[2:3]
	v_mad_u64_u32 v[12:13], null, s9, v38, v[6:7]
	v_lshlrev_b32_e32 v2, 2, v42
	v_add_co_u32 v7, s0, v24, v7
	v_add_co_ci_u32_e64 v8, s0, v25, v8, s0
	v_mov_b32_e32 v6, v11
	global_load_dword v9, v60, s[12:13]
	global_load_dword v13, v[0:1], off
	global_load_dword v60, v2, s[12:13]
	global_load_dword v4, v[3:4], off
	v_lshlrev_b32_e32 v2, 2, v41
	v_mov_b32_e32 v11, v12
	v_lshlrev_b64 v[0:1], 2, v[5:6]
	global_load_dword v5, v[7:8], off
	v_lshlrev_b32_e32 v6, 2, v40
	global_load_dword v7, v2, s[12:13]
	v_lshlrev_b64 v[2:3], 2, v[10:11]
	v_lshlrev_b32_e32 v8, 2, v39
	v_add_co_u32 v0, s0, v24, v0
	v_add_co_ci_u32_e64 v1, s0, v25, v1, s0
	v_add_co_u32 v2, s0, v24, v2
	v_add_co_ci_u32_e64 v3, s0, v25, v3, s0
	v_lshlrev_b32_e32 v10, 2, v38
	global_load_dword v6, v6, s[12:13]
	global_load_dword v0, v[0:1], off
	global_load_dword v1, v8, s[12:13]
	global_load_dword v2, v[2:3], off
	global_load_dword v3, v10, s[12:13]
	v_lshl_add_u32 v8, v55, 2, v48
	s_waitcnt vmcnt(26)
	v_lshrrev_b32_e32 v10, 16, v20
	v_mul_f16_sdwa v11, v26, v20 dst_sel:DWORD dst_unused:UNUSED_PAD src0_sel:WORD_1 src1_sel:DWORD
	s_waitcnt vmcnt(25)
	v_lshrrev_b32_e32 v12, 16, v33
	v_mul_f16_sdwa v24, v27, v33 dst_sel:DWORD dst_unused:UNUSED_PAD src0_sel:WORD_1 src1_sel:DWORD
	;; [unrolled: 3-line block ×7, first 2 shown]
	s_waitcnt vmcnt(19)
	v_lshrrev_b32_e32 v70, 16, v15
	s_waitcnt vmcnt(18)
	v_mul_f16_sdwa v71, v16, v15 dst_sel:DWORD dst_unused:UNUSED_PAD src0_sel:WORD_1 src1_sel:DWORD
	s_waitcnt vmcnt(17)
	v_lshrrev_b32_e32 v72, 16, v17
	v_mul_f16_sdwa v90, v26, v10 dst_sel:DWORD dst_unused:UNUSED_PAD src0_sel:WORD_1 src1_sel:DWORD
	v_fma_f16 v10, v26, v10, -v11
	v_mul_f16_sdwa v11, v27, v12 dst_sel:DWORD dst_unused:UNUSED_PAD src0_sel:WORD_1 src1_sel:DWORD
	v_fma_f16 v12, v27, v12, -v24
	;; [unrolled: 2-line block ×8, first 2 shown]
	s_waitcnt vmcnt(16)
	v_mul_f16_sdwa v73, v18, v17 dst_sel:DWORD dst_unused:UNUSED_PAD src0_sel:WORD_1 src1_sel:DWORD
	v_mul_f16_sdwa v71, v18, v72 dst_sel:DWORD dst_unused:UNUSED_PAD src0_sel:WORD_1 src1_sel:DWORD
	v_fmac_f16_e32 v90, v26, v20
	v_fmac_f16_e32 v11, v27, v33
	s_waitcnt vmcnt(15)
	v_lshrrev_b32_e32 v74, 16, v19
	v_fma_f16 v72, v18, v72, -v73
	v_fmac_f16_e32 v24, v28, v34
	v_fmac_f16_e32 v61, v29, v35
	;; [unrolled: 1-line block ×7, first 2 shown]
	s_waitcnt vmcnt(14)
	v_mul_f16_sdwa v75, v22, v19 dst_sel:DWORD dst_unused:UNUSED_PAD src0_sel:WORD_1 src1_sel:DWORD
	s_waitcnt vmcnt(13)
	v_lshrrev_b32_e32 v76, 16, v23
	v_mul_f16_sdwa v73, v22, v74 dst_sel:DWORD dst_unused:UNUSED_PAD src0_sel:WORD_1 src1_sel:DWORD
	v_fma_f16 v74, v22, v74, -v75
	v_fmac_f16_e32 v73, v22, v19
	s_waitcnt vmcnt(12)
	v_mul_f16_sdwa v77, v58, v23 dst_sel:DWORD dst_unused:UNUSED_PAD src0_sel:WORD_1 src1_sel:DWORD
	s_waitcnt vmcnt(11)
	v_lshrrev_b32_e32 v78, 16, v59
	v_mul_f16_sdwa v75, v58, v76 dst_sel:DWORD dst_unused:UNUSED_PAD src0_sel:WORD_1 src1_sel:DWORD
	v_fma_f16 v76, v58, v76, -v77
	v_fmac_f16_e32 v75, v58, v23
	s_waitcnt vmcnt(10)
	v_mul_f16_sdwa v79, v9, v59 dst_sel:DWORD dst_unused:UNUSED_PAD src0_sel:WORD_1 src1_sel:DWORD
	s_waitcnt vmcnt(9)
	v_lshrrev_b32_e32 v80, 16, v13
	s_waitcnt vmcnt(8)
	v_mul_f16_sdwa v81, v60, v13 dst_sel:DWORD dst_unused:UNUSED_PAD src0_sel:WORD_1 src1_sel:DWORD
	s_waitcnt vmcnt(7)
	v_lshrrev_b32_e32 v82, 16, v4
	v_mul_f16_sdwa v77, v9, v78 dst_sel:DWORD dst_unused:UNUSED_PAD src0_sel:WORD_1 src1_sel:DWORD
	v_fma_f16 v78, v9, v78, -v79
	s_waitcnt vmcnt(6)
	v_lshrrev_b32_e32 v84, 16, v5
	v_mul_f16_sdwa v79, v60, v80 dst_sel:DWORD dst_unused:UNUSED_PAD src0_sel:WORD_1 src1_sel:DWORD
	s_waitcnt vmcnt(5)
	v_mul_f16_sdwa v83, v7, v4 dst_sel:DWORD dst_unused:UNUSED_PAD src0_sel:WORD_1 src1_sel:DWORD
	v_fma_f16 v80, v60, v80, -v81
	v_mul_f16_sdwa v81, v7, v82 dst_sel:DWORD dst_unused:UNUSED_PAD src0_sel:WORD_1 src1_sel:DWORD
	v_fmac_f16_e32 v77, v9, v59
	v_fmac_f16_e32 v79, v60, v13
	v_fma_f16 v82, v7, v82, -v83
	v_pack_b32_f16 v9, v71, v72
	v_fmac_f16_e32 v81, v7, v4
	s_waitcnt vmcnt(4)
	v_mul_f16_sdwa v85, v6, v5 dst_sel:DWORD dst_unused:UNUSED_PAD src0_sel:WORD_1 src1_sel:DWORD
	s_waitcnt vmcnt(3)
	v_lshrrev_b32_e32 v86, 16, v0
	s_waitcnt vmcnt(2)
	v_mul_f16_sdwa v87, v1, v0 dst_sel:DWORD dst_unused:UNUSED_PAD src0_sel:WORD_1 src1_sel:DWORD
	s_waitcnt vmcnt(1)
	v_lshrrev_b32_e32 v88, 16, v2
	s_waitcnt vmcnt(0)
	v_mul_f16_sdwa v89, v3, v2 dst_sel:DWORD dst_unused:UNUSED_PAD src0_sel:WORD_1 src1_sel:DWORD
	v_mul_f16_sdwa v83, v6, v84 dst_sel:DWORD dst_unused:UNUSED_PAD src0_sel:WORD_1 src1_sel:DWORD
	v_fma_f16 v84, v6, v84, -v85
	v_mul_f16_sdwa v85, v1, v86 dst_sel:DWORD dst_unused:UNUSED_PAD src0_sel:WORD_1 src1_sel:DWORD
	v_fma_f16 v86, v1, v86, -v87
	;; [unrolled: 2-line block ×3, first 2 shown]
	v_fmac_f16_e32 v83, v6, v5
	v_fmac_f16_e32 v85, v1, v0
	v_pack_b32_f16 v0, v90, v10
	v_fmac_f16_e32 v87, v3, v2
	v_pack_b32_f16 v1, v11, v12
	v_pack_b32_f16 v2, v24, v25
	;; [unrolled: 1-line block ×15, first 2 shown]
	ds_write_b32 v57, v0
	ds_write2st64_b32 v8, v1, v2 offset0:1 offset1:2
	ds_write2st64_b32 v8, v3, v4 offset0:3 offset1:4
	;; [unrolled: 1-line block ×8, first 2 shown]
.LBB0_3:
	s_or_b32 exec_lo, exec_lo, s1
	s_clause 0x1
	s_load_dwordx2 s[2:3], s[4:5], 0x20
	s_load_dwordx2 s[0:1], s[4:5], 0x8
	v_mov_b32_e32 v28, 0
	v_lshlrev_b32_e32 v58, 2, v55
	s_waitcnt lgkmcnt(0)
	s_barrier
	buffer_gl0_inv
                                        ; implicit-def: $vgpr1
                                        ; implicit-def: $vgpr3
                                        ; implicit-def: $vgpr5
                                        ; implicit-def: $vgpr7
                                        ; implicit-def: $vgpr9
                                        ; implicit-def: $vgpr11
                                        ; implicit-def: $vgpr13
                                        ; implicit-def: $vgpr81
                                        ; implicit-def: $vgpr14
                                        ; kill: def $vgpr0 killed $sgpr0 killed $exec
	s_and_saveexec_b32 s4, vcc_lo
	s_cbranch_execz .LBB0_5
; %bb.4:
	v_lshl_add_u32 v0, v56, 2, v58
	ds_read2st64_b32 v[14:15], v0 offset0:1 offset1:2
	ds_read2st64_b32 v[12:13], v0 offset0:3 offset1:4
	;; [unrolled: 1-line block ×8, first 2 shown]
	ds_read_b32 v28, v57
	s_waitcnt lgkmcnt(8)
	v_alignbit_b32 v81, v15, v15, 16
.LBB0_5:
	s_or_b32 exec_lo, exec_lo, s4
	s_waitcnt lgkmcnt(1)
	v_pk_add_f16 v15, v14, v1 neg_lo:[0,1] neg_hi:[0,1]
	v_mov_b32_e32 v92, 0xb5c8
	v_pk_add_f16 v20, v1, v14
	v_pk_add_f16 v16, v0, v81 op_sel:[1,0] op_sel_hi:[0,1]
	v_pk_add_f16 v22, v81, v0 op_sel:[1,0] op_sel_hi:[0,1] neg_lo:[0,1] neg_hi:[0,1]
	v_mov_b32_e32 v95, 0xb964
	v_mul_f16_sdwa v35, v15, v92 dst_sel:DWORD dst_unused:UNUSED_PAD src0_sel:WORD_1 src1_sel:DWORD
	v_lshrrev_b32_e32 v74, 16, v20
	v_lshrrev_b32_e32 v73, 16, v16
	v_mul_f16_e32 v63, 0xb5c8, v15
	v_mul_f16_sdwa v34, v22, v95 dst_sel:DWORD dst_unused:UNUSED_PAD src0_sel:WORD_1 src1_sel:DWORD
	v_fmamk_f16 v18, v20, 0x3b76, v35
	v_pk_add_f16 v17, v12, v3 neg_lo:[0,1] neg_hi:[0,1]
	v_mov_b32_e32 v98, 0xbb29
	v_fma_f16 v23, v74, 0x3b76, -v63
	v_fmamk_f16 v24, v73, 0x39e9, v34
	s_waitcnt lgkmcnt(0)
	v_add_f16_e32 v18, v18, v28
	v_mul_f16_e32 v67, 0xb964, v22
	v_pk_add_f16 v19, v3, v12
	v_mul_f16_sdwa v36, v17, v98 dst_sel:DWORD dst_unused:UNUSED_PAD src0_sel:WORD_1 src1_sel:DWORD
	v_mov_b32_e32 v94, 0xbbf7
	v_add_f16_e32 v24, v24, v18
	v_pk_add_f16 v18, v13, v2 neg_lo:[0,1] neg_hi:[0,1]
	v_add_f16_sdwa v23, v23, v28 dst_sel:DWORD dst_unused:UNUSED_PAD src0_sel:DWORD src1_sel:WORD_1
	v_fma_f16 v26, v16, 0x39e9, -v67
	v_lshrrev_b32_e32 v75, 16, v19
	v_fmamk_f16 v27, v19, 0x3722, v36
	v_mul_f16_e32 v69, 0xbb29, v17
	v_pk_add_f16 v25, v2, v13
	v_mul_f16_sdwa v37, v18, v94 dst_sel:DWORD dst_unused:UNUSED_PAD src0_sel:WORD_1 src1_sel:DWORD
	v_add_f16_e32 v23, v26, v23
	v_add_f16_e32 v26, v27, v24
	v_fma_f16 v29, v75, 0x3722, -v69
	v_lshrrev_b32_e32 v77, 16, v25
	v_mul_f16_e32 v68, 0xbbf7, v18
	v_fmamk_f16 v30, v25, 0x2de8, v37
	v_pk_add_f16 v24, v10, v5 neg_lo:[0,1] neg_hi:[0,1]
	v_mov_b32_e32 v93, 0xbbb2
	v_pk_add_f16 v27, v5, v10
	v_add_f16_e32 v23, v29, v23
	v_add_f16_e32 v29, v30, v26
	v_fma_f16 v31, v77, 0x2de8, -v68
	v_mul_f16_sdwa v60, v24, v93 dst_sel:DWORD dst_unused:UNUSED_PAD src0_sel:WORD_1 src1_sel:DWORD
	v_lshrrev_b32_e32 v78, 16, v27
	v_mul_f16_e32 v71, 0xbbb2, v24
	v_pk_add_f16 v26, v11, v4 neg_lo:[0,1] neg_hi:[0,1]
	v_mov_b32_e32 v99, 0xba62
	v_pk_add_f16 v30, v4, v11
	v_add_f16_e32 v23, v31, v23
	v_fmamk_f16 v31, v27, 0xb461, v60
	v_fma_f16 v32, v78, 0xb461, -v71
	v_mul_f16_sdwa v61, v26, v99 dst_sel:DWORD dst_unused:UNUSED_PAD src0_sel:WORD_1 src1_sel:DWORD
	v_lshrrev_b32_e32 v79, 16, v30
	v_mul_f16_e32 v65, 0xba62, v26
	v_add_f16_e32 v29, v31, v29
	v_add_f16_e32 v23, v32, v23
	v_fmamk_f16 v33, v30, 0xb8d2, v61
	v_pk_add_f16 v31, v8, v7 neg_lo:[0,1] neg_hi:[0,1]
	v_mov_b32_e32 v97, 0xb836
	v_pk_add_f16 v32, v7, v8
	v_fma_f16 v59, v79, 0xb8d2, -v65
	v_add_f16_e32 v64, v33, v29
	v_mul_f16_e32 v72, 0xb836, v31
	v_mul_f16_sdwa v62, v31, v97 dst_sel:DWORD dst_unused:UNUSED_PAD src0_sel:WORD_1 src1_sel:DWORD
	v_lshrrev_b32_e32 v80, 16, v32
	v_pk_add_f16 v33, v6, v9
	v_pk_add_f16 v29, v9, v6 neg_lo:[0,1] neg_hi:[0,1]
	v_mov_b32_e32 v96, 0xb1e1
	v_add_f16_e32 v23, v59, v23
	v_fmamk_f16 v59, v32, 0xbacd, v62
	v_fma_f16 v82, v80, 0xbacd, -v72
	v_lshrrev_b32_e32 v76, 16, v33
	v_mul_f16_e32 v70, 0xb1e1, v29
	v_mul_f16_sdwa v66, v29, v96 dst_sel:DWORD dst_unused:UNUSED_PAD src0_sel:WORD_1 src1_sel:DWORD
	v_add_f16_e32 v64, v59, v64
	v_add_f16_e32 v23, v82, v23
	v_fma_f16 v59, v76, 0xbbdd, -v70
	v_fmamk_f16 v82, v33, 0xbbdd, v66
	s_barrier
	buffer_gl0_inv
	v_add_f16_e32 v59, v59, v23
	v_add_f16_e32 v23, v82, v64
	s_and_saveexec_b32 s4, vcc_lo
	s_cbranch_execz .LBB0_7
; %bb.6:
	v_mul_f16_sdwa v83, v15, v95 dst_sel:DWORD dst_unused:UNUSED_PAD src0_sel:WORD_1 src1_sel:DWORD
	v_mul_f16_sdwa v84, v22, v94 dst_sel:DWORD dst_unused:UNUSED_PAD src0_sel:WORD_1 src1_sel:DWORD
	;; [unrolled: 1-line block ×3, first 2 shown]
	v_alignbit_b32 v103, v81, v81, 16
	v_mul_f16_sdwa v81, v18, v96 dst_sel:DWORD dst_unused:UNUSED_PAD src0_sel:WORD_1 src1_sel:DWORD
	v_fmamk_f16 v85, v20, 0x39e9, v83
	v_fmamk_f16 v86, v73, 0x2de8, v84
	v_mov_b32_e32 v102, 0x3836
	v_mul_f16_e32 v90, 0x3722, v74
	v_fmamk_f16 v91, v19, 0xb8d2, v82
	v_add_f16_e32 v85, v85, v28
	v_mov_b32_e32 v101, 0x3bb2
	v_mul_f16_e32 v89, 0xb8d2, v16
	v_mul_f16_sdwa v87, v24, v102 dst_sel:DWORD dst_unused:UNUSED_PAD src0_sel:WORD_1 src1_sel:DWORD
	v_fmamk_f16 v104, v15, 0x3b29, v90
	v_add_f16_e32 v85, v86, v85
	v_fmamk_f16 v86, v25, 0xbbdd, v81
	v_alignbit_b32 v64, v28, v28, 16
	v_mul_f16_e32 v88, 0xbbdd, v75
	v_fmamk_f16 v105, v22, 0x3a62, v89
	v_add_f16_e32 v91, v91, v85
	v_mul_f16_sdwa v85, v26, v101 dst_sel:DWORD dst_unused:UNUSED_PAD src0_sel:WORD_1 src1_sel:DWORD
	v_fmamk_f16 v106, v27, 0xbacd, v87
	v_add_f16_sdwa v104, v104, v28 dst_sel:DWORD dst_unused:UNUSED_PAD src0_sel:DWORD src1_sel:WORD_1
	v_mov_b32_e32 v100, 0x3b29
	v_add_f16_e32 v86, v86, v91
	v_fmamk_f16 v107, v17, 0xb1e1, v88
	v_fmamk_f16 v109, v30, 0xb461, v85
	v_add_f16_e32 v104, v105, v104
	v_mul_f16_e32 v91, 0xb461, v77
	v_add_f16_e32 v105, v106, v86
	v_pk_add_f16 v14, v14, v64 op_sel:[0,1] op_sel_hi:[1,0]
	v_mov_b32_e32 v108, 0x35c8
	v_mul_f16_sdwa v86, v31, v100 dst_sel:DWORD dst_unused:UNUSED_PAD src0_sel:WORD_1 src1_sel:DWORD
	v_add_f16_e32 v104, v107, v104
	v_add_f16_e32 v107, v109, v105
	v_fmamk_f16 v105, v18, 0xbbb2, v91
	v_mul_f16_e32 v106, 0x39e9, v78
	v_pk_add_f16 v103, v103, v14
	v_fmamk_f16 v109, v32, 0x3722, v86
	v_mul_f16_sdwa v14, v29, v108 dst_sel:DWORD dst_unused:UNUSED_PAD src0_sel:WORD_1 src1_sel:DWORD
	v_add_f16_e32 v104, v105, v104
	v_fmamk_f16 v110, v24, 0xb964, v106
	v_mul_f16_e32 v105, 0x3b76, v79
	v_pk_add_f16 v12, v12, v103
	v_add_f16_e32 v103, v109, v107
	v_fmamk_f16 v107, v33, 0x3b76, v14
	v_add_f16_e32 v109, v110, v104
	v_fmamk_f16 v110, v26, 0x35c8, v105
	v_mul_f16_e32 v104, 0x2de8, v80
	v_pk_add_f16 v13, v13, v12
	v_mul_f16_e32 v111, 0x2de8, v74
	v_add_f16_e32 v12, v107, v103
	v_add_f16_e32 v103, v110, v109
	v_fmamk_f16 v109, v31, 0x3bf7, v104
	v_mul_f16_e32 v107, 0xbacd, v76
	v_fmamk_f16 v110, v15, 0x3bf7, v111
	v_mul_f16_e32 v112, 0xbbdd, v16
	v_pk_add_f16 v10, v10, v13
	v_add_f16_e32 v13, v109, v103
	v_fmamk_f16 v103, v29, 0x3836, v107
	v_add_f16_sdwa v109, v110, v28 dst_sel:DWORD dst_unused:UNUSED_PAD src0_sel:DWORD src1_sel:WORD_1
	v_fmamk_f16 v110, v22, 0x31e1, v112
	v_mul_f16_e32 v113, 0xb461, v75
	v_pk_add_f16 v11, v11, v10
	v_mul_f16_sdwa v114, v15, v94 dst_sel:DWORD dst_unused:UNUSED_PAD src0_sel:WORD_1 src1_sel:DWORD
	v_add_f16_e32 v10, v103, v13
	v_add_f16_e32 v13, v110, v109
	v_fmamk_f16 v103, v17, 0xbbb2, v113
	v_mul_f16_e32 v109, 0x3b76, v77
	v_pk_add_f16 v8, v8, v11
	v_fmamk_f16 v11, v20, 0x2de8, v114
	v_mul_f16_sdwa v110, v22, v96 dst_sel:DWORD dst_unused:UNUSED_PAD src0_sel:WORD_1 src1_sel:DWORD
	v_add_f16_e32 v13, v103, v13
	v_fmamk_f16 v115, v18, 0xb5c8, v109
	v_mul_f16_e32 v116, 0x3722, v78
	v_add_f16_e32 v11, v11, v28
	v_fmamk_f16 v117, v73, 0xbbdd, v110
	v_mul_f16_sdwa v118, v17, v101 dst_sel:DWORD dst_unused:UNUSED_PAD src0_sel:WORD_1 src1_sel:DWORD
	v_pk_add_f16 v103, v9, v8
	v_add_f16_e32 v8, v115, v13
	v_fmamk_f16 v9, v24, 0x3b29, v116
	v_add_f16_e32 v11, v117, v11
	v_fmamk_f16 v13, v19, 0xb461, v118
	v_mul_f16_sdwa v108, v18, v108 dst_sel:DWORD dst_unused:UNUSED_PAD src0_sel:WORD_1 src1_sel:DWORD
	v_mul_f16_e32 v115, 0xb461, v74
	v_add_f16_e32 v8, v9, v8
	v_mul_f16_e32 v119, 0xbacd, v16
	v_add_f16_e32 v9, v13, v11
	v_fmamk_f16 v11, v25, 0x3b76, v108
	v_fmamk_f16 v13, v15, 0x3bb2, v115
	v_mul_f16_sdwa v121, v24, v98 dst_sel:DWORD dst_unused:UNUSED_PAD src0_sel:WORD_1 src1_sel:DWORD
	v_mul_f16_e32 v122, 0x39e9, v75
	v_mul_f16_sdwa v124, v26, v97 dst_sel:DWORD dst_unused:UNUSED_PAD src0_sel:WORD_1 src1_sel:DWORD
	v_add_f16_e32 v9, v11, v9
	v_add_f16_sdwa v11, v13, v28 dst_sel:DWORD dst_unused:UNUSED_PAD src0_sel:DWORD src1_sel:WORD_1
	v_fmamk_f16 v13, v22, 0xb836, v119
	v_fmamk_f16 v123, v27, 0x3722, v121
	v_mov_b32_e32 v125, 0x3a62
	v_mul_f16_e32 v117, 0xbacd, v79
	v_mul_f16_e32 v126, 0x3722, v77
	v_add_f16_e32 v11, v13, v11
	v_fmamk_f16 v13, v17, 0xb964, v122
	v_add_f16_e32 v9, v123, v9
	v_fmamk_f16 v123, v30, 0xbacd, v124
	v_mul_f16_sdwa v127, v31, v125 dst_sel:DWORD dst_unused:UNUSED_PAD src0_sel:WORD_1 src1_sel:DWORD
	v_fmamk_f16 v120, v26, 0x3836, v117
	v_add_f16_e32 v11, v13, v11
	v_fmamk_f16 v13, v18, 0x3b29, v126
	v_mul_f16_e32 v128, 0xbbdd, v78
	v_add_f16_e32 v9, v123, v9
	v_fmamk_f16 v123, v32, 0xb8d2, v127
	v_add_f16_e32 v8, v120, v8
	v_add_f16_e32 v11, v13, v11
	v_fmamk_f16 v13, v24, 0x31e1, v128
	v_mul_f16_e32 v120, 0x2de8, v79
	v_add_f16_e32 v9, v123, v9
	v_mov_b32_e32 v123, 0x3964
	v_mul_f16_sdwa v129, v15, v93 dst_sel:DWORD dst_unused:UNUSED_PAD src0_sel:WORD_1 src1_sel:DWORD
	v_add_f16_e32 v11, v13, v11
	v_fmamk_f16 v13, v26, 0xbbf7, v120
	v_mul_f16_e32 v130, 0x3b76, v80
	v_mul_f16_sdwa v131, v29, v123 dst_sel:DWORD dst_unused:UNUSED_PAD src0_sel:WORD_1 src1_sel:DWORD
	v_fmamk_f16 v132, v20, 0xb461, v129
	v_mul_f16_sdwa v102, v22, v102 dst_sel:DWORD dst_unused:UNUSED_PAD src0_sel:WORD_1 src1_sel:DWORD
	v_add_f16_e32 v11, v13, v11
	v_fmamk_f16 v13, v31, 0x35c8, v130
	v_mul_f16_e32 v133, 0xb8d2, v76
	v_add_f16_e32 v132, v132, v28
	v_fmamk_f16 v134, v73, 0xbacd, v102
	v_mul_f16_sdwa v135, v17, v123 dst_sel:DWORD dst_unused:UNUSED_PAD src0_sel:WORD_1 src1_sel:DWORD
	v_fmamk_f16 v136, v33, 0x39e9, v131
	v_add_f16_e32 v11, v13, v11
	v_fmamk_f16 v13, v29, 0x3a62, v133
	v_add_f16_e32 v132, v134, v132
	v_fmamk_f16 v134, v19, 0x39e9, v135
	v_mul_f16_e32 v137, 0xb8d2, v74
	v_add_f16_e32 v9, v136, v9
	v_mul_f16_sdwa v136, v18, v98 dst_sel:DWORD dst_unused:UNUSED_PAD src0_sel:WORD_1 src1_sel:DWORD
	v_add_f16_e32 v11, v13, v11
	v_add_f16_e32 v13, v134, v132
	v_fmamk_f16 v98, v15, 0x3a62, v137
	v_mul_f16_e32 v132, 0xb461, v16
	v_fmamk_f16 v134, v25, 0x3722, v136
	v_mul_f16_sdwa v138, v24, v96 dst_sel:DWORD dst_unused:UNUSED_PAD src0_sel:WORD_1 src1_sel:DWORD
	v_mov_b32_e32 v139, 0x3bf7
	v_add_f16_sdwa v98, v98, v28 dst_sel:DWORD dst_unused:UNUSED_PAD src0_sel:DWORD src1_sel:WORD_1
	v_fmamk_f16 v140, v22, 0xbbb2, v132
	v_mul_f16_e32 v141, 0x3b76, v75
	v_add_f16_e32 v13, v134, v13
	v_fmamk_f16 v134, v27, 0xbbdd, v138
	v_mul_f16_sdwa v142, v26, v139 dst_sel:DWORD dst_unused:UNUSED_PAD src0_sel:WORD_1 src1_sel:DWORD
	v_add_f16_e32 v98, v140, v98
	v_fmamk_f16 v140, v17, 0x35c8, v141
	v_mul_f16_e32 v143, 0xbacd, v77
	v_add_f16_e32 v13, v134, v13
	v_fmamk_f16 v134, v30, 0x2de8, v142
	v_mul_f16_sdwa v144, v31, v92 dst_sel:DWORD dst_unused:UNUSED_PAD src0_sel:WORD_1 src1_sel:DWORD
	v_add_f16_e32 v98, v140, v98
	;; [unrolled: 6-line block ×7, first 2 shown]
	v_fmamk_f16 v140, v15, 0x3836, v152
	v_mul_f16_e32 v154, 0x3722, v16
	v_add_f16_e32 v134, v150, v134
	v_fmamk_f16 v150, v25, 0xbacd, v153
	v_mul_f16_sdwa v139, v24, v139 dst_sel:DWORD dst_unused:UNUSED_PAD src0_sel:WORD_1 src1_sel:DWORD
	v_add_f16_sdwa v140, v140, v28 dst_sel:DWORD dst_unused:UNUSED_PAD src0_sel:DWORD src1_sel:WORD_1
	v_fmamk_f16 v155, v22, 0xbb29, v154
	v_mul_f16_e32 v156, 0x2de8, v75
	v_add_f16_e32 v134, v150, v134
	v_fmamk_f16 v150, v27, 0x2de8, v139
	v_mul_f16_sdwa v95, v26, v95 dst_sel:DWORD dst_unused:UNUSED_PAD src0_sel:WORD_1 src1_sel:DWORD
	v_add_f16_e32 v140, v155, v140
	v_fmamk_f16 v155, v17, 0x3bf7, v156
	v_mul_f16_e32 v157, 0xb8d2, v77
	v_add_f16_e32 v134, v150, v134
	v_fmamk_f16 v150, v30, 0x39e9, v95
	v_mul_f16_sdwa v158, v31, v96 dst_sel:DWORD dst_unused:UNUSED_PAD src0_sel:WORD_1 src1_sel:DWORD
	v_add_f16_e32 v140, v155, v140
	v_fmamk_f16 v155, v18, 0xba62, v157
	v_mul_f16_e32 v159, 0x3b76, v78
	v_add_f16_e32 v134, v150, v134
	v_fmamk_f16 v150, v32, 0xbbdd, v158
	v_mul_f16_sdwa v97, v15, v97 dst_sel:DWORD dst_unused:UNUSED_PAD src0_sel:WORD_1 src1_sel:DWORD
	v_fmac_f16_e32 v152, 0xb836, v15
	v_add_f16_e32 v140, v155, v140
	v_fmamk_f16 v155, v24, 0x35c8, v159
	v_mul_f16_e32 v160, 0xbbdd, v79
	v_add_f16_e32 v134, v150, v134
	v_fmamk_f16 v150, v20, 0xbacd, v97
	v_mul_f16_sdwa v161, v22, v100 dst_sel:DWORD dst_unused:UNUSED_PAD src0_sel:WORD_1 src1_sel:DWORD
	v_add_f16_sdwa v152, v152, v28 dst_sel:DWORD dst_unused:UNUSED_PAD src0_sel:DWORD src1_sel:WORD_1
	v_fmac_f16_e32 v154, 0x3b29, v22
	v_fma_f16 v97, v20, 0xbacd, -v97
	v_add_f16_e32 v140, v155, v140
	v_fmamk_f16 v155, v26, 0x31e1, v160
	v_mul_f16_e32 v162, 0x39e9, v80
	v_add_f16_e32 v150, v150, v28
	v_fmamk_f16 v163, v73, 0x3722, v161
	v_mul_f16_sdwa v94, v17, v94 dst_sel:DWORD dst_unused:UNUSED_PAD src0_sel:WORD_1 src1_sel:DWORD
	v_add_f16_e32 v152, v154, v152
	v_add_f16_e32 v97, v97, v28
	v_fma_f16 v154, v73, 0x3722, -v161
	v_add_f16_e32 v140, v155, v140
	v_fmamk_f16 v155, v31, 0xb964, v162
	v_add_f16_e32 v150, v163, v150
	v_fmamk_f16 v163, v19, 0x2de8, v94
	v_mul_f16_sdwa v125, v18, v125 dst_sel:DWORD dst_unused:UNUSED_PAD src0_sel:WORD_1 src1_sel:DWORD
	v_add_f16_e32 v97, v154, v97
	v_fma_f16 v94, v19, 0x2de8, -v94
	v_add_f16_e32 v140, v155, v140
	v_add_f16_e32 v150, v163, v150
	v_fmamk_f16 v155, v25, 0xb8d2, v125
	v_mul_f16_sdwa v92, v24, v92 dst_sel:DWORD dst_unused:UNUSED_PAD src0_sel:WORD_1 src1_sel:DWORD
	v_add_f16_e32 v94, v94, v97
	v_fma_f16 v97, v25, 0xb8d2, -v125
	v_fmac_f16_e32 v137, 0xba62, v15
	v_add_f16_e32 v150, v155, v150
	v_fmamk_f16 v155, v27, 0x3b76, v92
	v_mul_f16_sdwa v96, v26, v96 dst_sel:DWORD dst_unused:UNUSED_PAD src0_sel:WORD_1 src1_sel:DWORD
	v_add_f16_e32 v94, v97, v94
	v_fma_f16 v92, v27, 0x3b76, -v92
	v_add_f16_sdwa v97, v137, v28 dst_sel:DWORD dst_unused:UNUSED_PAD src0_sel:DWORD src1_sel:WORD_1
	v_fmac_f16_e32 v132, 0x3bb2, v22
	v_add_f16_e32 v150, v155, v150
	v_fmamk_f16 v155, v30, 0xbbdd, v96
	v_mul_f16_sdwa v123, v31, v123 dst_sel:DWORD dst_unused:UNUSED_PAD src0_sel:WORD_1 src1_sel:DWORD
	v_add_f16_e32 v92, v92, v94
	v_fma_f16 v94, v30, 0xbbdd, -v96
	v_add_f16_e32 v96, v132, v97
	v_fmac_f16_e32 v141, 0xb5c8, v17
	v_fmac_f16_e32 v143, 0xb836, v18
	v_fma_f16 v99, v20, 0xb8d2, -v99
	v_add_f16_e32 v92, v94, v92
	v_fma_f16 v94, v32, 0x39e9, -v123
	v_add_f16_e32 v96, v141, v96
	v_fmac_f16_e32 v145, 0x3bf7, v24
	v_fmac_f16_e32 v115, 0xbbb2, v15
	v_mul_f16_sdwa v93, v29, v93 dst_sel:DWORD dst_unused:UNUSED_PAD src0_sel:WORD_1 src1_sel:DWORD
	v_add_f16_e32 v92, v94, v92
	v_add_f16_e32 v94, v143, v96
	;; [unrolled: 1-line block ×3, first 2 shown]
	v_fma_f16 v99, v73, 0xb461, -v101
	v_fmac_f16_e32 v147, 0xb964, v26
	v_add_f16_sdwa v101, v115, v28 dst_sel:DWORD dst_unused:UNUSED_PAD src0_sel:DWORD src1_sel:WORD_1
	v_add_f16_e32 v94, v145, v94
	v_fmac_f16_e32 v119, 0x3836, v22
	v_add_f16_e32 v96, v99, v96
	v_fma_f16 v99, v19, 0x3b76, -v151
	v_fmamk_f16 v125, v33, 0xb461, v93
	v_fma_f16 v93, v33, 0xb461, -v93
	v_add_f16_e32 v94, v147, v94
	v_fmac_f16_e32 v148, 0xb1e1, v31
	v_add_f16_e32 v96, v99, v96
	v_fma_f16 v99, v25, 0xbacd, -v153
	v_add_f16_e32 v101, v119, v101
	v_fmac_f16_e32 v122, 0x3964, v17
	v_add_f16_e32 v92, v93, v92
	v_add_f16_e32 v93, v148, v94
	;; [unrolled: 1-line block ×3, first 2 shown]
	v_fma_f16 v96, v27, 0x2de8, -v139
	v_add_f16_e32 v99, v122, v101
	v_fmac_f16_e32 v126, 0xbb29, v18
	v_fma_f16 v101, v20, 0xb461, -v129
	v_fma_f16 v95, v30, 0x39e9, -v95
	v_add_f16_e32 v94, v96, v94
	v_fmac_f16_e32 v128, 0xb1e1, v24
	v_add_f16_e32 v96, v126, v99
	v_add_f16_e32 v99, v101, v28
	v_fma_f16 v101, v73, 0xbacd, -v102
	v_mul_f16_sdwa v100, v29, v100 dst_sel:DWORD dst_unused:UNUSED_PAD src0_sel:WORD_1 src1_sel:DWORD
	v_add_f16_e32 v94, v95, v94
	v_fma_f16 v95, v32, 0xbbdd, -v158
	v_add_f16_e32 v96, v128, v96
	v_fmac_f16_e32 v120, 0x3bf7, v26
	v_add_f16_e32 v99, v101, v99
	v_fma_f16 v101, v19, 0x39e9, -v135
	v_fmamk_f16 v164, v33, 0x3722, v100
	v_add_f16_e32 v94, v95, v94
	v_fma_f16 v95, v33, 0x3722, -v100
	v_add_f16_e32 v96, v120, v96
	v_fmac_f16_e32 v130, 0xb5c8, v31
	v_add_f16_e32 v99, v101, v99
	v_fma_f16 v100, v25, 0x3722, -v136
	v_fmac_f16_e32 v111, 0xbbf7, v15
	v_add_f16_e32 v94, v95, v94
	v_add_f16_e32 v95, v130, v96
	v_fmac_f16_e32 v112, 0xb1e1, v22
	v_add_f16_e32 v96, v100, v99
	v_fma_f16 v99, v27, 0xbbdd, -v138
	v_add_f16_sdwa v100, v111, v28 dst_sel:DWORD dst_unused:UNUSED_PAD src0_sel:DWORD src1_sel:WORD_1
	v_fma_f16 v101, v20, 0x2de8, -v114
	v_fmac_f16_e32 v113, 0x3bb2, v17
	v_fma_f16 v102, v73, 0xbbdd, -v110
	v_add_f16_e32 v96, v99, v96
	v_fma_f16 v99, v30, 0x2de8, -v142
	v_add_f16_e32 v100, v112, v100
	v_add_f16_e32 v101, v101, v28
	v_fmac_f16_e32 v109, 0x35c8, v18
	v_fmac_f16_e32 v90, 0xbb29, v15
	v_add_f16_e32 v96, v99, v96
	v_fma_f16 v99, v32, 0x3b76, -v144
	v_add_f16_e32 v100, v113, v100
	v_add_f16_e32 v101, v102, v101
	v_fma_f16 v102, v19, 0xb461, -v118
	v_fmac_f16_e32 v116, 0xbb29, v24
	v_add_f16_e32 v96, v99, v96
	v_add_f16_e32 v99, v109, v100
	v_add_f16_sdwa v90, v90, v28 dst_sel:DWORD dst_unused:UNUSED_PAD src0_sel:DWORD src1_sel:WORD_1
	v_add_f16_e32 v100, v102, v101
	v_fma_f16 v101, v25, 0x3b76, -v108
	v_fmac_f16_e32 v89, 0xba62, v22
	v_add_f16_e32 v99, v116, v99
	v_fmac_f16_e32 v117, 0xb836, v26
	v_mul_f16_e32 v108, 0xb8d2, v80
	v_add_f16_e32 v100, v101, v100
	v_fma_f16 v101, v27, 0x3722, -v121
	v_add_f16_e32 v89, v89, v90
	v_fmac_f16_e32 v88, 0x31e1, v17
	v_add_f16_e32 v99, v117, v99
	v_fmamk_f16 v90, v31, 0xba62, v108
	v_add_f16_e32 v100, v101, v100
	v_fma_f16 v101, v30, 0xbacd, -v124
	v_fmac_f16_e32 v108, 0x3a62, v31
	v_add_f16_e32 v88, v88, v89
	v_mul_f16_e32 v89, 0x39e9, v76
	v_fmac_f16_e32 v91, 0x3bb2, v18
	v_add_f16_e32 v100, v101, v100
	v_fma_f16 v101, v32, 0xb8d2, -v127
	v_fma_f16 v102, v33, 0xb8d2, -v146
	v_add_f16_e32 v99, v108, v99
	v_add_f16_e32 v88, v91, v88
	v_fmac_f16_e32 v106, 0x3964, v24
	v_add_f16_e32 v100, v101, v100
	v_fmamk_f16 v101, v29, 0x3964, v89
	v_fma_f16 v83, v20, 0x39e9, -v83
	v_add_f16_e32 v96, v102, v96
	v_mul_f16_e32 v91, 0x3b76, v20
	v_fma_f16 v102, v33, 0x39e9, -v131
	v_mul_f16_e32 v74, 0x3b76, v74
	v_add_f16_e32 v99, v101, v99
	v_mul_f16_e32 v101, 0x39e9, v73
	v_add_f16_e32 v88, v106, v88
	v_fmac_f16_e32 v105, 0xb5c8, v26
	v_fma_f16 v73, v73, 0x2de8, -v84
	v_add_f16_e32 v83, v83, v28
	v_add_f16_e32 v100, v102, v100
	v_mul_f16_e32 v102, 0x39e9, v16
	v_add_f16_e32 v88, v105, v88
	v_fmac_f16_e32 v104, 0xbbf7, v31
	v_add_f16_e32 v73, v73, v83
	v_fma_f16 v82, v19, 0xb8d2, -v82
	v_add_f16_e32 v63, v63, v74
	v_sub_f16_e32 v35, v91, v35
	v_mul_f16_e32 v106, 0x3722, v19
	v_mul_f16_e32 v75, 0x3722, v75
	v_add_f16_e32 v88, v104, v88
	v_fmac_f16_e32 v107, 0xb836, v29
	v_add_f16_e32 v73, v82, v73
	v_pk_mul_f16 v82, 0x39e93722, v20
	v_add_f16_sdwa v63, v63, v28 dst_sel:DWORD dst_unused:UNUSED_PAD src0_sel:DWORD src1_sel:WORD_1
	v_add_f16_e32 v67, v67, v102
	v_add_f16_e32 v28, v35, v28
	v_sub_f16_e32 v34, v101, v34
	v_mul_f16_e32 v84, 0x2de8, v25
	v_mul_f16_e32 v77, 0x2de8, v77
	v_fma_f16 v81, v25, 0xbbdd, -v81
	v_add_f16_e32 v88, v107, v88
	v_pk_mul_f16 v107, 0xba62bbf7, v22
	v_pk_fma_f16 v74, 0xbb29b964, v15, v82 op_sel:[0,0,1] op_sel_hi:[1,1,0] neg_lo:[0,1,0] neg_hi:[0,1,0]
	v_add_f16_e32 v63, v67, v63
	v_add_f16_e32 v69, v69, v75
	v_pk_fma_f16 v82, 0xbb29b964, v15, v82 op_sel:[0,0,1] op_sel_hi:[1,1,0]
	v_add_f16_e32 v28, v34, v28
	v_sub_f16_e32 v36, v106, v36
	v_pk_add_f16 v6, v6, v103
	v_mul_f16_e32 v105, 0xb461, v27
	v_mul_f16_e32 v78, 0xb461, v78
	v_add_f16_e32 v73, v81, v73
	v_fma_f16 v81, v27, 0xbacd, -v87
	v_pk_fma_f16 v87, 0xb8d22de8, v16, v107 neg_lo:[0,0,1] neg_hi:[0,0,1]
	v_pk_mul_f16 v102, 0xb8d2bbdd, v19
	v_add_f16_e32 v63, v69, v63
	v_add_f16_e32 v68, v68, v77
	v_pk_fma_f16 v107, 0xb8d22de8, v16, v107
	v_add_f16_e32 v28, v36, v28
	v_sub_f16_e32 v36, v84, v37
	v_pk_add_f16 v6, v7, v6
	v_bfi_b32 v7, 0xffff, v82, v74
	v_mul_f16_e32 v83, 0xb8d2, v30
	v_mul_f16_e32 v79, 0xb8d2, v79
	v_add_f16_e32 v73, v81, v73
	v_pk_mul_f16 v81, 0xbbddb461, v25
	v_fma_f16 v85, v30, 0xb461, -v85
	v_pk_fma_f16 v75, 0x31e1ba62, v17, v102 op_sel:[0,0,1] op_sel_hi:[1,1,0] neg_lo:[0,1,0] neg_hi:[0,1,0]
	v_add_f16_e32 v63, v68, v63
	v_pk_fma_f16 v102, 0x31e1ba62, v17, v102 op_sel:[0,0,1] op_sel_hi:[1,1,0]
	v_add_f16_e32 v71, v71, v78
	v_add_f16_e32 v28, v36, v28
	v_sub_f16_e32 v36, v105, v60
	v_pk_add_f16 v4, v4, v6
	v_pk_add_f16 v6, v7, v64
	v_bfi_b32 v7, 0xffff, v107, v87
	v_mul_f16_e32 v104, 0xbacd, v32
	v_mul_f16_e32 v80, 0xbacd, v80
	v_add_f16_e32 v73, v85, v73
	v_pk_fma_f16 v85, 0x3bb2b1e1, v18, v81 op_sel:[0,0,1] op_sel_hi:[1,1,0] neg_lo:[0,1,0] neg_hi:[0,1,0]
	v_pk_mul_f16 v69, 0xbacd39e9, v27
	v_fma_f16 v86, v32, 0x3722, -v86
	v_pk_fma_f16 v81, 0x3bb2b1e1, v18, v81 op_sel:[0,0,1] op_sel_hi:[1,1,0]
	v_add_f16_e32 v63, v71, v63
	v_add_f16_e32 v65, v65, v79
	;; [unrolled: 1-line block ×3, first 2 shown]
	v_sub_f16_e32 v36, v83, v61
	v_pk_add_f16 v4, v5, v4
	v_pk_add_f16 v5, v7, v6
	v_bfi_b32 v6, 0xffff, v102, v75
	v_mul_f16_e32 v165, 0xb461, v76
	v_add_f16_e32 v73, v86, v73
	v_pk_fma_f16 v86, 0x39643836, v24, v69 op_sel:[0,0,1] op_sel_hi:[1,1,0] neg_lo:[0,1,0] neg_hi:[0,1,0]
	v_pk_mul_f16 v68, 0xb4613b76, v30
	v_pk_fma_f16 v69, 0x39643836, v24, v69 op_sel:[0,0,1] op_sel_hi:[1,1,0]
	v_mul_f16_e32 v71, 0xbbdd, v33
	v_mul_f16_e32 v76, 0xbbdd, v76
	v_add_f16_e32 v37, v65, v63
	v_add_f16_e32 v63, v72, v80
	;; [unrolled: 1-line block ×3, first 2 shown]
	v_sub_f16_e32 v28, v104, v62
	v_pk_add_f16 v2, v2, v4
	v_pk_add_f16 v4, v6, v5
	v_bfi_b32 v5, 0xffff, v81, v85
	v_pk_fma_f16 v78, 0xb5c83bb2, v26, v68 op_sel:[0,0,1] op_sel_hi:[1,1,0] neg_lo:[0,1,0] neg_hi:[0,1,0]
	v_pk_mul_f16 v91, 0x37222de8, v32
	v_pk_fma_f16 v68, 0xb5c83bb2, v26, v68 op_sel:[0,0,1] op_sel_hi:[1,1,0]
	v_add_f16_e32 v37, v63, v37
	v_add_f16_e32 v60, v70, v76
	v_mul_lo_u16 v36, v56, 17
	v_add_f16_e32 v6, v28, v7
	v_sub_f16_e32 v7, v71, v66
	v_pk_add_f16 v2, v3, v2
	v_pk_add_f16 v4, v5, v4
	v_bfi_b32 v5, 0xffff, v69, v86
	v_pk_fma_f16 v35, 0xbbf73b29, v31, v91 op_sel:[0,0,1] op_sel_hi:[1,1,0] neg_lo:[0,1,0] neg_hi:[0,1,0]
	v_pk_fma_f16 v91, 0xbbf73b29, v31, v91 op_sel:[0,0,1] op_sel_hi:[1,1,0]
	v_and_b32_e32 v3, 0xffff, v36
	v_add_f16_e32 v28, v60, v37
	v_pk_add_f16 v0, v0, v2
	v_add_f16_e32 v2, v7, v6
	v_pk_add_f16 v4, v5, v4
	v_bfi_b32 v5, 0xffff, v68, v78
	v_pk_mul_f16 v101, 0x3b76bacd, v33
	v_add_lshl_u32 v3, v55, v3, 2
	v_pk_add_f16 v0, v1, v0
	v_pack_b32_f16 v1, v2, v28
	v_pk_mul_f16 v6, 0xbbdd, v20 op_sel_hi:[0,1]
	v_pk_add_f16 v4, v5, v4
	v_bfi_b32 v5, 0xffff, v91, v35
	v_pk_add_f16 v77, v82, v64
	v_pk_fma_f16 v34, 0xb83635c8, v29, v101 op_sel:[0,0,1] op_sel_hi:[1,1,0] neg_lo:[0,1,0] neg_hi:[0,1,0]
	v_fma_f16 v14, v33, 0x3b76, -v14
	ds_write2_b32 v3, v0, v1 offset1:1
	v_pk_fma_f16 v0, 0xb83635c8, v29, v101 op_sel:[0,0,1] op_sel_hi:[1,1,0]
	v_pk_fma_f16 v1, 0xb1e1, v15, v6 op_sel:[0,0,1] op_sel_hi:[0,1,0] neg_lo:[0,1,0] neg_hi:[0,1,0]
	v_pk_mul_f16 v7, 0x35c8, v22 op_sel_hi:[0,1]
	v_pk_add_f16 v4, v5, v4
	v_pk_fma_f16 v5, 0xb1e1, v15, v6 op_sel:[0,0,1] op_sel_hi:[0,1,0]
	v_pk_add_f16 v77, v107, v77
	v_add_f16_e32 v2, v14, v73
	v_bfi_b32 v0, 0xffff, v0, v34
	v_pk_add_f16 v1, v1, v64
	v_pk_fma_f16 v6, 0x3b76, v16, v7 op_sel_hi:[0,1,1] neg_lo:[0,0,1] neg_hi:[0,0,1]
	v_pk_mul_f16 v14, 0xbacd, v19 op_sel_hi:[0,1]
	v_pk_add_f16 v5, v5, v64
	v_pk_fma_f16 v7, 0x3b76, v16, v7 op_sel_hi:[0,1,1]
	v_fmac_f16_e32 v156, 0xbbf7, v17
	v_pk_add_f16 v77, v102, v77
	v_pk_add_f16 v0, v0, v4
	;; [unrolled: 1-line block ×3, first 2 shown]
	v_pk_fma_f16 v4, 0xb836, v17, v14 op_sel:[0,0,1] op_sel_hi:[0,1,0] neg_lo:[0,1,0] neg_hi:[0,1,0]
	v_pk_mul_f16 v6, 0x39e9, v25 op_sel_hi:[0,1]
	v_pk_add_f16 v5, v7, v5
	v_pk_fma_f16 v7, 0xb836, v17, v14 op_sel:[0,0,1] op_sel_hi:[0,1,0]
	v_add_f16_e32 v67, v74, v64
	v_add_f16_e32 v152, v156, v152
	v_fmac_f16_e32 v157, 0x3a62, v18
	v_pk_add_f16 v77, v81, v77
	v_pk_add_f16 v1, v4, v1
	v_pk_fma_f16 v4, 0x3964, v18, v6 op_sel:[0,0,1] op_sel_hi:[0,1,0] neg_lo:[0,1,0] neg_hi:[0,1,0]
	v_pk_mul_f16 v15, 0xb8d2, v27 op_sel_hi:[0,1]
	v_pk_add_f16 v5, v7, v5
	v_pk_fma_f16 v6, 0x3964, v18, v6 op_sel:[0,0,1] op_sel_hi:[0,1,0]
	v_add_f16_e32 v67, v87, v67
	v_add_f16_e32 v152, v157, v152
	v_fmac_f16_e32 v159, 0xb5c8, v24
	v_pk_add_f16 v77, v69, v77
	v_alignbit_b32 v14, v88, v0, 16
	v_pack_b32_f16 v0, v2, v0
	v_pk_add_f16 v1, v4, v1
	v_pk_fma_f16 v2, 0xba62, v24, v15 op_sel:[0,0,1] op_sel_hi:[0,1,0] neg_lo:[0,1,0] neg_hi:[0,1,0]
	v_pk_mul_f16 v4, 0x3722, v30 op_sel_hi:[0,1]
	v_pk_add_f16 v5, v6, v5
	v_pk_fma_f16 v6, 0xba62, v24, v15 op_sel:[0,0,1] op_sel_hi:[0,1,0]
	v_add_f16_e32 v67, v75, v67
	v_add_f16_e32 v152, v159, v152
	v_fmac_f16_e32 v160, 0xb1e1, v26
	v_pk_add_f16 v77, v68, v77
	v_mul_f16_e32 v79, 0x3964, v29
	v_pk_add_f16 v1, v2, v1
	v_pk_fma_f16 v2, 0x3b29, v26, v4 op_sel:[0,0,1] op_sel_hi:[0,1,0] neg_lo:[0,1,0] neg_hi:[0,1,0]
	v_pk_mul_f16 v15, 0xb461, v32 op_sel_hi:[0,1]
	v_pk_add_f16 v5, v6, v5
	v_pk_fma_f16 v4, 0x3b29, v26, v4 op_sel:[0,0,1] op_sel_hi:[0,1,0]
	v_add_f16_e32 v67, v85, v67
	v_add_f16_e32 v137, v160, v152
	v_fmac_f16_e32 v162, 0x3964, v31
	v_pk_mul_f16 v106, 0xb83635c8, v29
	v_pk_add_f16 v1, v2, v1
	v_pk_fma_f16 v2, 0xbbb2, v31, v15 op_sel:[0,0,1] op_sel_hi:[0,1,0] neg_lo:[0,1,0] neg_hi:[0,1,0]
	v_pk_mul_f16 v16, 0x2de8, v33 op_sel_hi:[0,1]
	v_pk_add_f16 v4, v4, v5
	v_pk_fma_f16 v5, 0xbbb2, v31, v15 op_sel:[0,0,1] op_sel_hi:[0,1,0]
	v_bfi_b32 v17, 0xffff, v79, v77
	v_add_f16_e32 v67, v86, v67
	v_add_f16_e32 v150, v155, v150
	v_fmamk_f16 v155, v32, 0x39e9, v123
	v_fmac_f16_e32 v133, 0xba62, v29
	v_fmamk_f16 v163, v29, 0x3bb2, v165
	v_add_f16_e32 v97, v162, v137
	v_fmac_f16_e32 v165, 0xbbb2, v29
	v_fmac_f16_e32 v149, 0x3b29, v29
	v_pk_add_f16 v1, v2, v1
	v_pk_fma_f16 v2, 0x3bf7, v29, v16 op_sel:[0,0,1] op_sel_hi:[0,1,0] neg_lo:[0,1,0] neg_hi:[0,1,0]
	v_pk_add_f16 v4, v5, v4
	v_pk_fma_f16 v5, 0x3bf7, v29, v16 op_sel:[0,0,1] op_sel_hi:[0,1,0]
	v_pack_b32_f16 v16, v90, v101
	v_bfi_b32 v8, 0xffff, v8, v106
	v_pk_add_f16 v17, v89, v17 neg_lo:[0,1] neg_hi:[0,1]
	v_pk_add_f16 v18, v91, v77
	v_add_f16_e32 v67, v78, v67
	v_add_f16_e32 v150, v155, v150
	;; [unrolled: 1-line block ×5, first 2 shown]
	v_pk_add_f16 v1, v2, v1
	v_pk_add_f16 v2, v5, v4
	;; [unrolled: 1-line block ×3, first 2 shown]
	v_bfi_b32 v5, 0xffff, v17, v18
	v_add_f16_e32 v67, v35, v67
	v_add_f16_e32 v134, v164, v134
	;; [unrolled: 1-line block ×4, first 2 shown]
	v_pack_b32_f16 v7, v96, v95
	v_pack_b32_f16 v6, v100, v99
	;; [unrolled: 1-line block ×4, first 2 shown]
	v_pk_add_f16 v4, v5, v4
	v_add_f16_e32 v67, v34, v67
	ds_write2_b32 v3, v0, v14 offset0:2 offset1:3
	ds_write2_b32 v3, v6, v7 offset0:4 offset1:5
	;; [unrolled: 1-line block ×3, first 2 shown]
	v_alignbit_b32 v0, v1, v2, 16
	v_alignbit_b32 v1, v2, v1, 16
	v_pack_b32_f16 v2, v134, v98
	v_pack_b32_f16 v5, v123, v140
	;; [unrolled: 1-line block ×3, first 2 shown]
	v_alignbit_b32 v7, v10, v4, 16
	v_pack_b32_f16 v4, v9, v4
	v_pack_b32_f16 v8, v12, v67
	v_perm_b32 v9, v59, v23, 0x5040100
	ds_write2_b32 v3, v1, v0 offset0:8 offset1:9
	ds_write2_b32 v3, v5, v2 offset0:10 offset1:11
	ds_write_b32 v3, v6 offset:48
	ds_write2_b32 v3, v4, v7 offset0:13 offset1:14
	ds_write2_b32 v3, v8, v9 offset0:15 offset1:16
.LBB0_7:
	s_or_b32 exec_lo, exec_lo, s4
	v_and_b32_e32 v0, 0xff, v56
	v_add_nc_u16 v2, v56, 0x44
	v_add_nc_u16 v20, v56, 0x88
	v_add_nc_u32_e32 v37, 0xcc, v56
	v_mov_b32_e32 v3, 0xf0f1
	v_mul_lo_u16 v0, 0xf1, v0
	s_load_dwordx4 s[4:7], s[2:3], 0x0
	v_and_b32_e32 v30, 0xff, v20
	s_waitcnt lgkmcnt(0)
	v_mul_u32_u24_sdwa v31, v37, v3 dst_sel:DWORD dst_unused:UNUSED_PAD src0_sel:WORD_0 src1_sel:DWORD
	v_lshrrev_b16 v36, 12, v0
	v_and_b32_e32 v0, 0xff, v2
	v_mul_lo_u16 v4, 0xf1, v30
	s_barrier
	v_lshrrev_b32_e32 v64, 20, v31
	v_mul_lo_u16 v1, v36, 17
	v_mul_lo_u16 v0, 0xf1, v0
	v_lshrrev_b16 v62, 12, v4
	buffer_gl0_inv
	v_mul_lo_u16 v5, v64, 17
	v_sub_nc_u16 v1, v56, v1
	v_lshrrev_b16 v61, 12, v0
	v_mul_lo_u16 v4, v62, 17
	v_add_lshl_u32 v60, v55, v56, 2
	v_sub_nc_u16 v65, v37, v5
	v_and_b32_e32 v63, 0xff, v1
	v_mul_lo_u16 v3, v61, 17
	v_mul_lo_u16 v69, 0x79, v30
	v_add_nc_u32_e32 v22, 0x400, v60
	v_add_nc_u32_e32 v25, 0x800, v60
	v_mad_u64_u32 v[0:1], null, v63, 12, s[0:1]
	v_sub_nc_u16 v2, v2, v3
	v_sub_nc_u16 v3, v20, v4
	v_mul_lo_u16 v4, v65, 12
	v_add_nc_u32_e32 v24, 0xc00, v60
	v_lshrrev_b32_e32 v70, 22, v31
	v_and_b32_e32 v66, 0xff, v2
	v_and_b32_e32 v67, 0xff, v3
	global_load_dwordx3 v[9:11], v[0:1], off
	v_and_b32_e32 v12, 0xffff, v4
	v_mov_b32_e32 v68, 0x44
	v_mad_u64_u32 v[0:1], null, v66, 12, s[0:1]
	v_mad_u64_u32 v[2:3], null, v67, 12, s[0:1]
	v_lshrrev_b16 v69, 13, v69
	v_mul_u32_u24_sdwa v36, v36, v68 dst_sel:DWORD dst_unused:UNUSED_PAD src0_sel:WORD_0 src1_sel:DWORD
	s_clause 0x1
	global_load_dwordx3 v[6:8], v[0:1], off
	global_load_dwordx3 v[3:5], v[2:3], off
	v_add_co_u32 v0, s2, s0, v12
	v_add_co_ci_u32_e64 v1, null, s1, 0, s2
	ds_read2_b32 v[12:13], v60 offset1:68
	ds_read2_b32 v[14:15], v60 offset0:136 offset1:204
	v_mul_u32_u24_sdwa v61, v61, v68 dst_sel:DWORD dst_unused:UNUSED_PAD src0_sel:WORD_0 src1_sel:DWORD
	global_load_dwordx3 v[0:2], v[0:1], off
	ds_read2_b32 v[18:19], v22 offset0:16 offset1:84
	ds_read2_b32 v[26:27], v25 offset0:32 offset1:100
	;; [unrolled: 1-line block ×6, first 2 shown]
	v_mul_u32_u24_sdwa v62, v62, v68 dst_sel:DWORD dst_unused:UNUSED_PAD src0_sel:WORD_0 src1_sel:DWORD
	v_mul_lo_u16 v68, 0x44, v69
	v_mad_u16 v64, 0x44, v64, v65
	v_add_nc_u32_e32 v36, v36, v63
	v_add_nc_u32_e32 v61, v61, v66
	;; [unrolled: 1-line block ×3, first 2 shown]
	v_sub_nc_u16 v20, v20, v68
	v_and_b32_e32 v63, 0xffff, v64
	v_add_lshl_u32 v67, v55, v36, 2
	v_add_lshl_u32 v64, v55, v61, 2
	v_mul_lo_u16 v70, 0x44, v70
	v_and_b32_e32 v84, 0xff, v20
	v_add_lshl_u32 v62, v55, v63, 2
	v_add_lshl_u32 v63, v55, v66, 2
	s_waitcnt lgkmcnt(7)
	v_lshrrev_b32_e32 v69, 16, v12
	v_sub_nc_u16 v37, v37, v70
	s_waitcnt lgkmcnt(5)
	v_lshrrev_b32_e32 v68, 16, v18
	s_waitcnt lgkmcnt(4)
	v_lshrrev_b32_e32 v73, 16, v26
	;; [unrolled: 2-line block ×3, first 2 shown]
	v_lshrrev_b32_e32 v75, 16, v19
	v_lshrrev_b32_e32 v76, 16, v27
	;; [unrolled: 1-line block ×3, first 2 shown]
	s_waitcnt lgkmcnt(2)
	v_lshrrev_b32_e32 v78, 16, v30
	s_waitcnt lgkmcnt(1)
	v_lshrrev_b32_e32 v79, 16, v32
	;; [unrolled: 2-line block ×3, first 2 shown]
	v_lshrrev_b32_e32 v83, 16, v35
	v_lshrrev_b32_e32 v81, 16, v31
	;; [unrolled: 1-line block ×6, first 2 shown]
	s_waitcnt vmcnt(0)
	s_barrier
	buffer_gl0_inv
	v_mul_lo_u16 v65, v37, 12
	v_mad_u64_u32 v[16:17], null, v56, 12, s[0:1]
	v_mul_f16_sdwa v20, v68, v9 dst_sel:DWORD dst_unused:UNUSED_PAD src0_sel:DWORD src1_sel:WORD_1
	v_mul_f16_sdwa v36, v18, v9 dst_sel:DWORD dst_unused:UNUSED_PAD src0_sel:DWORD src1_sel:WORD_1
	;; [unrolled: 1-line block ×6, first 2 shown]
	v_fma_f16 v18, v18, v9, -v20
	v_fmac_f16_e32 v36, v68, v9
	v_fma_f16 v20, v26, v10, -v61
	v_fmac_f16_e32 v66, v73, v10
	;; [unrolled: 2-line block ×3, first 2 shown]
	v_mul_f16_sdwa v28, v75, v6 dst_sel:DWORD dst_unused:UNUSED_PAD src0_sel:DWORD src1_sel:WORD_1
	v_mul_f16_sdwa v61, v19, v6 dst_sel:DWORD dst_unused:UNUSED_PAD src0_sel:DWORD src1_sel:WORD_1
	;; [unrolled: 1-line block ×18, first 2 shown]
	v_fma_f16 v19, v19, v6, -v28
	v_fmac_f16_e32 v61, v75, v6
	v_fma_f16 v27, v27, v7, -v68
	v_fmac_f16_e32 v73, v76, v7
	;; [unrolled: 2-line block ×3, first 2 shown]
	v_fma_f16 v29, v30, v3, -v87
	v_fma_f16 v30, v32, v4, -v89
	;; [unrolled: 1-line block ×4, first 2 shown]
	v_sub_f16_e32 v35, v69, v66
	v_fmac_f16_e32 v88, v78, v3
	v_fmac_f16_e32 v90, v79, v4
	;; [unrolled: 1-line block ×3, first 2 shown]
	v_sub_f16_e32 v66, v36, v86
	v_fma_f16 v31, v31, v0, -v93
	v_fmac_f16_e32 v94, v81, v0
	v_fma_f16 v33, v33, v1, -v95
	v_fmac_f16_e32 v96, v82, v1
	v_sub_f16_e32 v20, v12, v20
	v_sub_f16_e32 v26, v18, v26
	v_fmac_f16_e32 v98, v83, v2
	v_fma_f16 v68, v69, 2.0, -v35
	v_sub_f16_e32 v27, v13, v27
	v_sub_f16_e32 v69, v70, v73
	;; [unrolled: 1-line block ×4, first 2 shown]
	v_fma_f16 v36, v36, 2.0, -v66
	v_sub_f16_e32 v30, v14, v30
	v_sub_f16_e32 v74, v71, v90
	;; [unrolled: 1-line block ×4, first 2 shown]
	v_fma_f16 v12, v12, 2.0, -v20
	v_fma_f16 v18, v18, 2.0, -v26
	v_sub_f16_e32 v33, v15, v33
	v_sub_f16_e32 v76, v72, v96
	;; [unrolled: 1-line block ×5, first 2 shown]
	v_add_f16_e32 v26, v35, v26
	v_fma_f16 v13, v13, 2.0, -v27
	v_fma_f16 v70, v70, 2.0, -v69
	;; [unrolled: 1-line block ×4, first 2 shown]
	v_sub_f16_e32 v36, v68, v36
	v_add_f16_e32 v28, v69, v28
	v_fma_f16 v14, v14, 2.0, -v30
	v_fma_f16 v71, v71, 2.0, -v74
	;; [unrolled: 1-line block ×4, first 2 shown]
	v_sub_f16_e32 v18, v12, v18
	v_fma_f16 v15, v15, 2.0, -v33
	v_fma_f16 v72, v72, 2.0, -v76
	;; [unrolled: 1-line block ×6, first 2 shown]
	v_sub_f16_e32 v73, v27, v73
	v_sub_f16_e32 v19, v13, v19
	;; [unrolled: 1-line block ×4, first 2 shown]
	v_add_f16_e32 v32, v74, v32
	v_pack_b32_f16 v26, v66, v26
	v_fma_f16 v66, v68, 2.0, -v36
	v_fma_f16 v68, v69, 2.0, -v28
	v_sub_f16_e32 v29, v14, v29
	v_sub_f16_e32 v69, v71, v78
	;; [unrolled: 1-line block ×3, first 2 shown]
	v_add_f16_e32 v34, v76, v34
	v_fma_f16 v12, v12, 2.0, -v18
	v_sub_f16_e32 v31, v15, v31
	v_sub_f16_e32 v78, v72, v79
	v_fma_f16 v27, v27, 2.0, -v73
	v_pack_b32_f16 v20, v20, v35
	v_pack_b32_f16 v18, v18, v36
	v_fma_f16 v13, v13, 2.0, -v19
	v_fma_f16 v35, v70, 2.0, -v61
	;; [unrolled: 1-line block ×10, first 2 shown]
	v_pack_b32_f16 v12, v12, v66
	v_pack_b32_f16 v28, v73, v28
	;; [unrolled: 1-line block ×3, first 2 shown]
	ds_write2_b32 v67, v18, v26 offset0:34 offset1:51
	v_pack_b32_f16 v18, v27, v68
	v_pack_b32_f16 v13, v13, v35
	;; [unrolled: 1-line block ×7, first 2 shown]
	ds_write2_b32 v67, v12, v20 offset1:17
	v_pack_b32_f16 v12, v15, v70
	v_pack_b32_f16 v34, v77, v34
	;; [unrolled: 1-line block ×3, first 2 shown]
	ds_write2_b32 v64, v19, v28 offset0:34 offset1:51
	ds_write2_b32 v64, v13, v18 offset1:17
	ds_write2_b32 v63, v14, v26 offset1:17
	ds_write2_b32 v63, v27, v32 offset0:34 offset1:51
	ds_write2_b32 v62, v12, v29 offset1:17
	ds_write2_b32 v62, v30, v34 offset0:34 offset1:51
	v_mad_u64_u32 v[12:13], null, v84, 12, s[0:1]
	v_and_b32_e32 v14, 0xffff, v65
	s_waitcnt lgkmcnt(0)
	s_barrier
	buffer_gl0_inv
	global_load_dwordx3 v[18:20], v[16:17], off offset:204
	v_and_b32_e32 v34, 0xffff, v37
	global_load_dwordx3 v[15:17], v[12:13], off offset:204
	v_add_co_u32 v12, s2, s0, v14
	v_add_co_ci_u32_e64 v13, null, s1, 0, s2
	v_add_lshl_u32 v65, v55, v34, 2
	v_add_lshl_u32 v66, v55, v84, 2
	v_lshlrev_b32_e32 v61, 2, v56
	global_load_dwordx3 v[12:14], v[12:13], off offset:204
	ds_read2_b32 v[26:27], v60 offset1:68
	ds_read2_b32 v[28:29], v22 offset0:16 offset1:84
	ds_read2_b32 v[30:31], v25 offset0:32 offset1:100
	;; [unrolled: 1-line block ×7, first 2 shown]
	v_add_nc_u32_e32 v73, 0x800, v66
	s_waitcnt vmcnt(0) lgkmcnt(0)
	s_barrier
	buffer_gl0_inv
	v_add_nc_u32_e32 v72, 0xc00, v65
	v_lshrrev_b32_e32 v74, 16, v26
	v_lshrrev_b32_e32 v75, 16, v28
	;; [unrolled: 1-line block ×16, first 2 shown]
	v_mul_f16_sdwa v90, v75, v18 dst_sel:DWORD dst_unused:UNUSED_PAD src0_sel:DWORD src1_sel:WORD_1
	v_mul_f16_sdwa v91, v28, v18 dst_sel:DWORD dst_unused:UNUSED_PAD src0_sel:DWORD src1_sel:WORD_1
	v_mul_f16_sdwa v92, v76, v19 dst_sel:DWORD dst_unused:UNUSED_PAD src0_sel:DWORD src1_sel:WORD_1
	v_mul_f16_sdwa v93, v30, v19 dst_sel:DWORD dst_unused:UNUSED_PAD src0_sel:DWORD src1_sel:WORD_1
	v_mul_f16_sdwa v94, v77, v20 dst_sel:DWORD dst_unused:UNUSED_PAD src0_sel:DWORD src1_sel:WORD_1
	v_mul_f16_sdwa v95, v32, v20 dst_sel:DWORD dst_unused:UNUSED_PAD src0_sel:DWORD src1_sel:WORD_1
	v_mul_f16_sdwa v96, v79, v18 dst_sel:DWORD dst_unused:UNUSED_PAD src0_sel:DWORD src1_sel:WORD_1
	v_mul_f16_sdwa v97, v29, v18 dst_sel:DWORD dst_unused:UNUSED_PAD src0_sel:DWORD src1_sel:WORD_1
	v_mul_f16_sdwa v98, v80, v19 dst_sel:DWORD dst_unused:UNUSED_PAD src0_sel:DWORD src1_sel:WORD_1
	v_mul_f16_sdwa v99, v31, v19 dst_sel:DWORD dst_unused:UNUSED_PAD src0_sel:DWORD src1_sel:WORD_1
	v_mul_f16_sdwa v100, v81, v20 dst_sel:DWORD dst_unused:UNUSED_PAD src0_sel:DWORD src1_sel:WORD_1
	v_mul_f16_sdwa v101, v33, v20 dst_sel:DWORD dst_unused:UNUSED_PAD src0_sel:DWORD src1_sel:WORD_1
	v_mul_f16_sdwa v102, v83, v15 dst_sel:DWORD dst_unused:UNUSED_PAD src0_sel:DWORD src1_sel:WORD_1
	v_mul_f16_sdwa v103, v36, v15 dst_sel:DWORD dst_unused:UNUSED_PAD src0_sel:DWORD src1_sel:WORD_1
	v_mul_f16_sdwa v104, v84, v16 dst_sel:DWORD dst_unused:UNUSED_PAD src0_sel:DWORD src1_sel:WORD_1
	v_mul_f16_sdwa v105, v68, v16 dst_sel:DWORD dst_unused:UNUSED_PAD src0_sel:DWORD src1_sel:WORD_1
	v_mul_f16_sdwa v106, v85, v17 dst_sel:DWORD dst_unused:UNUSED_PAD src0_sel:DWORD src1_sel:WORD_1
	v_mul_f16_sdwa v107, v70, v17 dst_sel:DWORD dst_unused:UNUSED_PAD src0_sel:DWORD src1_sel:WORD_1
	v_mul_f16_sdwa v108, v87, v12 dst_sel:DWORD dst_unused:UNUSED_PAD src0_sel:DWORD src1_sel:WORD_1
	v_mul_f16_sdwa v109, v37, v12 dst_sel:DWORD dst_unused:UNUSED_PAD src0_sel:DWORD src1_sel:WORD_1
	v_mul_f16_sdwa v110, v88, v13 dst_sel:DWORD dst_unused:UNUSED_PAD src0_sel:DWORD src1_sel:WORD_1
	v_mul_f16_sdwa v111, v69, v13 dst_sel:DWORD dst_unused:UNUSED_PAD src0_sel:DWORD src1_sel:WORD_1
	v_mul_f16_sdwa v112, v89, v14 dst_sel:DWORD dst_unused:UNUSED_PAD src0_sel:DWORD src1_sel:WORD_1
	v_mul_f16_sdwa v113, v71, v14 dst_sel:DWORD dst_unused:UNUSED_PAD src0_sel:DWORD src1_sel:WORD_1
	v_fma_f16 v28, v28, v18, -v90
	v_fmac_f16_e32 v91, v75, v18
	v_fma_f16 v30, v30, v19, -v92
	v_fmac_f16_e32 v93, v76, v19
	;; [unrolled: 2-line block ×12, first 2 shown]
	v_sub_f16_e32 v30, v26, v30
	v_sub_f16_e32 v75, v74, v93
	;; [unrolled: 1-line block ×16, first 2 shown]
	v_fma_f16 v26, v26, 2.0, -v30
	v_fma_f16 v74, v74, 2.0, -v75
	;; [unrolled: 1-line block ×16, first 2 shown]
	v_sub_f16_e32 v76, v30, v76
	v_add_f16_e32 v32, v75, v32
	v_sub_f16_e32 v28, v26, v28
	v_sub_f16_e32 v85, v74, v85
	v_sub_f16_e32 v79, v31, v79
	v_add_f16_e32 v33, v77, v33
	v_sub_f16_e32 v29, v27, v29
	v_sub_f16_e32 v87, v78, v87
	;; [unrolled: 4-line block ×4, first 2 shown]
	v_fma_f16 v30, v30, 2.0, -v76
	v_fma_f16 v75, v75, 2.0, -v32
	;; [unrolled: 1-line block ×6, first 2 shown]
	v_pack_b32_f16 v32, v76, v32
	v_fma_f16 v27, v27, 2.0, -v29
	v_fma_f16 v76, v78, 2.0, -v87
	;; [unrolled: 1-line block ×6, first 2 shown]
	v_pack_b32_f16 v28, v28, v85
	v_fma_f16 v69, v69, 2.0, -v84
	v_fma_f16 v83, v83, 2.0, -v71
	v_pack_b32_f16 v33, v79, v33
	v_fma_f16 v35, v35, 2.0, -v37
	v_fma_f16 v79, v86, 2.0, -v89
	v_pack_b32_f16 v29, v29, v87
	v_pack_b32_f16 v30, v30, v75
	;; [unrolled: 1-line block ×6, first 2 shown]
	ds_write2_b32 v60, v28, v32 offset0:136 offset1:204
	v_pack_b32_f16 v28, v34, v78
	v_pack_b32_f16 v70, v81, v70
	;; [unrolled: 1-line block ×5, first 2 shown]
	ds_write2_b32 v22, v29, v33 offset0:152 offset1:220
	v_pack_b32_f16 v29, v35, v79
	v_pack_b32_f16 v37, v37, v89
	ds_write2_b32 v60, v26, v30 offset1:68
	ds_write2_b32 v22, v27, v31 offset0:16 offset1:84
	ds_write2_b32 v73, v28, v68 offset0:32 offset1:100
	;; [unrolled: 1-line block ×5, first 2 shown]
	s_waitcnt lgkmcnt(0)
	s_barrier
	buffer_gl0_inv
	s_clause 0x3
	global_load_dword v69, v61, s[0:1] offset:1020
	global_load_dword v71, v61, s[0:1] offset:1292
	;; [unrolled: 1-line block ×4, first 2 shown]
	ds_read2_b32 v[26:27], v60 offset1:68
	ds_read2_b32 v[28:29], v25 offset0:32 offset1:100
	ds_read2_b32 v[30:31], v60 offset0:136 offset1:204
	;; [unrolled: 1-line block ×7, first 2 shown]
	v_add_co_u32 v76, s0, s0, v61
	v_add_co_ci_u32_e64 v77, null, s1, 0, s0
	s_waitcnt vmcnt(0) lgkmcnt(0)
	v_add_co_u32 v81, s0, 0x800, v76
	v_add_co_ci_u32_e64 v82, s0, 0, v77, s0
	s_barrier
	buffer_gl0_inv
	v_lshrrev_b32_e32 v76, 16, v26
	v_lshrrev_b32_e32 v77, 16, v28
	;; [unrolled: 1-line block ×16, first 2 shown]
	v_mul_f16_sdwa v94, v77, v69 dst_sel:DWORD dst_unused:UNUSED_PAD src0_sel:DWORD src1_sel:WORD_1
	v_mul_f16_sdwa v95, v28, v69 dst_sel:DWORD dst_unused:UNUSED_PAD src0_sel:DWORD src1_sel:WORD_1
	;; [unrolled: 1-line block ×16, first 2 shown]
	v_fma_f16 v28, v28, v69, -v94
	v_fmac_f16_e32 v95, v77, v69
	v_fma_f16 v29, v29, v71, -v96
	v_fmac_f16_e32 v97, v79, v71
	;; [unrolled: 2-line block ×8, first 2 shown]
	v_sub_f16_e32 v28, v26, v28
	v_sub_f16_e32 v77, v76, v95
	;; [unrolled: 1-line block ×16, first 2 shown]
	v_fma_f16 v26, v26, 2.0, -v28
	v_fma_f16 v76, v76, 2.0, -v77
	;; [unrolled: 1-line block ×8, first 2 shown]
	v_pack_b32_f16 v28, v28, v77
	v_pack_b32_f16 v29, v29, v79
	v_fma_f16 v34, v34, 2.0, -v36
	v_fma_f16 v86, v86, 2.0, -v87
	;; [unrolled: 1-line block ×8, first 2 shown]
	v_pack_b32_f16 v32, v32, v83
	v_pack_b32_f16 v33, v33, v85
	;; [unrolled: 1-line block ×8, first 2 shown]
	ds_write2_b32 v22, v28, v29 offset0:16 offset1:84
	v_pack_b32_f16 v28, v30, v80
	v_pack_b32_f16 v29, v31, v84
	v_pack_b32_f16 v30, v34, v86
	v_pack_b32_f16 v31, v35, v88
	ds_write2_b32 v22, v32, v33 offset0:152 offset1:220
	v_pack_b32_f16 v32, v72, v90
	v_pack_b32_f16 v33, v73, v92
	ds_write2_b32 v24, v36, v37 offset0:48 offset1:116
	ds_write2_b32 v24, v74, v75 offset0:184 offset1:252
	ds_write2_b32 v60, v26, v27 offset1:68
	ds_write2_b32 v60, v28, v29 offset0:136 offset1:204
	ds_write2_b32 v25, v30, v31 offset0:32 offset1:100
	;; [unrolled: 1-line block ×3, first 2 shown]
	s_waitcnt lgkmcnt(0)
	s_barrier
	buffer_gl0_inv
	s_clause 0x7
	global_load_dword v78, v[81:82], off offset:60
	global_load_dword v80, v[81:82], off offset:332
	;; [unrolled: 1-line block ×8, first 2 shown]
	ds_read2_b32 v[88:89], v60 offset1:68
	ds_read2_b32 v[26:27], v25 offset0:32 offset1:100
	ds_read2_b32 v[96:97], v60 offset0:136 offset1:204
	;; [unrolled: 1-line block ×7, first 2 shown]
	v_lshl_add_u32 v72, v56, 2, v58
	v_add_nc_u32_e32 v81, v61, v58
	v_add_nc_u32_e32 v82, 0x800, v72
	;; [unrolled: 1-line block ×4, first 2 shown]
	s_waitcnt lgkmcnt(7)
	v_lshrrev_b32_e32 v33, 16, v88
	s_waitcnt lgkmcnt(6)
	v_lshrrev_b32_e32 v22, 16, v26
	v_lshrrev_b32_e32 v32, 16, v27
	s_waitcnt lgkmcnt(4)
	v_lshrrev_b32_e32 v34, 16, v28
	v_lshrrev_b32_e32 v35, 16, v29
	s_waitcnt lgkmcnt(2)
	v_lshrrev_b32_e32 v36, 16, v30
	v_lshrrev_b32_e32 v83, 16, v31
	s_waitcnt lgkmcnt(0)
	v_lshrrev_b32_e32 v84, 16, v24
	v_lshrrev_b32_e32 v85, 16, v25
	v_lshrrev_b32_e32 v37, 16, v89
	;; [unrolled: 1-line block ×8, first 2 shown]
	s_waitcnt vmcnt(7)
	v_mul_f16_sdwa v87, v22, v78 dst_sel:DWORD dst_unused:UNUSED_PAD src0_sel:DWORD src1_sel:WORD_1
	v_mul_f16_sdwa v90, v26, v78 dst_sel:DWORD dst_unused:UNUSED_PAD src0_sel:DWORD src1_sel:WORD_1
	s_waitcnt vmcnt(6)
	v_mul_f16_sdwa v91, v32, v80 dst_sel:DWORD dst_unused:UNUSED_PAD src0_sel:DWORD src1_sel:WORD_1
	v_mul_f16_sdwa v93, v27, v80 dst_sel:DWORD dst_unused:UNUSED_PAD src0_sel:DWORD src1_sel:WORD_1
	;; [unrolled: 3-line block ×4, first 2 shown]
	s_waitcnt vmcnt(3)
	v_mul_f16_sdwa v110, v36, v74 dst_sel:DWORD dst_unused:UNUSED_PAD src0_sel:DWORD src1_sel:WORD_1
	s_waitcnt vmcnt(2)
	v_mul_f16_sdwa v112, v83, v75 dst_sel:DWORD dst_unused:UNUSED_PAD src0_sel:DWORD src1_sel:WORD_1
	v_mul_f16_sdwa v111, v30, v74 dst_sel:DWORD dst_unused:UNUSED_PAD src0_sel:DWORD src1_sel:WORD_1
	;; [unrolled: 1-line block ×3, first 2 shown]
	s_waitcnt vmcnt(1)
	v_mul_f16_sdwa v114, v84, v77 dst_sel:DWORD dst_unused:UNUSED_PAD src0_sel:DWORD src1_sel:WORD_1
	s_waitcnt vmcnt(0)
	v_mul_f16_sdwa v116, v85, v73 dst_sel:DWORD dst_unused:UNUSED_PAD src0_sel:DWORD src1_sel:WORD_1
	v_mul_f16_sdwa v115, v24, v77 dst_sel:DWORD dst_unused:UNUSED_PAD src0_sel:DWORD src1_sel:WORD_1
	v_mul_f16_sdwa v117, v25, v73 dst_sel:DWORD dst_unused:UNUSED_PAD src0_sel:DWORD src1_sel:WORD_1
	v_fma_f16 v26, v26, v78, -v87
	v_fmac_f16_e32 v90, v22, v78
	v_fma_f16 v22, v27, v80, -v91
	v_fmac_f16_e32 v93, v32, v80
	;; [unrolled: 2-line block ×4, first 2 shown]
	v_fma_f16 v29, v30, v74, -v110
	v_fma_f16 v31, v31, v75, -v112
	v_fmac_f16_e32 v111, v36, v74
	v_fmac_f16_e32 v113, v83, v75
	v_fma_f16 v24, v24, v77, -v114
	v_fma_f16 v25, v25, v73, -v116
	v_fmac_f16_e32 v115, v84, v77
	v_fmac_f16_e32 v117, v85, v73
	v_sub_f16_e32 v34, v88, v26
	v_sub_f16_e32 v95, v33, v90
	;; [unrolled: 1-line block ×16, first 2 shown]
	v_fma_f16 v83, v88, 2.0, -v34
	v_fma_f16 v88, v33, 2.0, -v95
	;; [unrolled: 1-line block ×10, first 2 shown]
	v_pack_b32_f16 v100, v34, v95
	v_pack_b32_f16 v101, v36, v94
	v_fma_f16 v96, v106, 2.0, -v90
	v_fma_f16 v92, v107, 2.0, -v87
	;; [unrolled: 1-line block ×4, first 2 shown]
	v_pack_b32_f16 v102, v32, v93
	v_pack_b32_f16 v103, v30, v91
	v_fma_f16 v89, v108, 2.0, -v85
	v_fma_f16 v86, v109, 2.0, -v84
	v_pack_b32_f16 v106, v28, v90
	v_pack_b32_f16 v107, v26, v87
	;; [unrolled: 1-line block ×4, first 2 shown]
	ds_write2_b32 v82, v100, v101 offset0:32 offset1:100
	v_pack_b32_f16 v100, v37, v98
	v_pack_b32_f16 v101, v33, v97
	ds_write2_b32 v82, v102, v103 offset0:168 offset1:236
	v_pack_b32_f16 v82, v31, v96
	v_pack_b32_f16 v102, v29, v92
	;; [unrolled: 1-line block ×5, first 2 shown]
	ds_write2_b32 v105, v106, v107 offset0:48 offset1:116
	v_pack_b32_f16 v105, v25, v86
	ds_write2_b32 v72, v110, v111 offset1:68
	ds_write2_b32 v72, v100, v101 offset0:136 offset1:204
	ds_write2_b32 v104, v82, v102 offset0:16 offset1:84
	ds_write_b32 v72, v103 offset:1632
	ds_write_b32 v81, v108 offset:3808
	;; [unrolled: 1-line block ×4, first 2 shown]
	s_waitcnt lgkmcnt(0)
	s_barrier
	buffer_gl0_inv
	s_and_saveexec_b32 s2, vcc_lo
	s_cbranch_execz .LBB0_9
; %bb.8:
	s_add_u32 s0, s12, 0x1100
	s_addc_u32 s1, s13, 0
	v_or_b32_e32 v100, 0x800, v48
	s_clause 0x5
	global_load_dword v82, v48, s[0:1]
	global_load_dword v116, v48, s[0:1] offset:256
	global_load_dword v117, v48, s[0:1] offset:512
	;; [unrolled: 1-line block ×5, first 2 shown]
	v_or_b32_e32 v101, 0x900, v48
	v_or_b32_e32 v102, 0xa00, v48
	s_clause 0x4
	global_load_dword v121, v48, s[0:1] offset:1536
	global_load_dword v122, v48, s[0:1] offset:1792
	global_load_dword v123, v100, s[0:1]
	global_load_dword v124, v101, s[0:1]
	;; [unrolled: 1-line block ×3, first 2 shown]
	v_or_b32_e32 v100, 0xb00, v48
	v_or_b32_e32 v101, 0xc00, v48
	;; [unrolled: 1-line block ×3, first 2 shown]
	s_clause 0x2
	global_load_dword v126, v100, s[0:1]
	global_load_dword v127, v101, s[0:1]
	;; [unrolled: 1-line block ×3, first 2 shown]
	v_or_b32_e32 v100, 0xe00, v48
	v_or_b32_e32 v101, 0xf00, v48
	;; [unrolled: 1-line block ×3, first 2 shown]
	s_clause 0x2
	global_load_dword v129, v100, s[0:1]
	global_load_dword v130, v101, s[0:1]
	;; [unrolled: 1-line block ×3, first 2 shown]
	ds_read_b32 v100, v57
	s_waitcnt lgkmcnt(0)
	v_lshrrev_b32_e32 v101, 16, v100
	s_waitcnt vmcnt(16)
	v_mul_f16_sdwa v102, v101, v82 dst_sel:DWORD dst_unused:UNUSED_PAD src0_sel:DWORD src1_sel:WORD_1
	v_mul_f16_sdwa v103, v100, v82 dst_sel:DWORD dst_unused:UNUSED_PAD src0_sel:DWORD src1_sel:WORD_1
	v_fma_f16 v100, v100, v82, -v102
	v_fmac_f16_e32 v103, v101, v82
	v_pack_b32_f16 v82, v100, v103
	ds_write_b32 v57, v82
	ds_read2st64_b32 v[100:101], v72 offset0:1 offset1:2
	ds_read2st64_b32 v[102:103], v72 offset0:3 offset1:4
	ds_read2st64_b32 v[104:105], v72 offset0:5 offset1:6
	ds_read2st64_b32 v[106:107], v72 offset0:7 offset1:8
	ds_read2st64_b32 v[108:109], v72 offset0:9 offset1:10
	ds_read2st64_b32 v[110:111], v72 offset0:11 offset1:12
	ds_read2st64_b32 v[112:113], v72 offset0:13 offset1:14
	ds_read2st64_b32 v[114:115], v72 offset0:15 offset1:16
	s_waitcnt lgkmcnt(7)
	v_lshrrev_b32_e32 v82, 16, v100
	s_waitcnt vmcnt(15)
	v_mul_f16_sdwa v132, v100, v116 dst_sel:DWORD dst_unused:UNUSED_PAD src0_sel:DWORD src1_sel:WORD_1
	v_lshrrev_b32_e32 v133, 16, v101
	s_waitcnt vmcnt(14)
	v_mul_f16_sdwa v134, v101, v117 dst_sel:DWORD dst_unused:UNUSED_PAD src0_sel:DWORD src1_sel:WORD_1
	s_waitcnt lgkmcnt(6)
	v_lshrrev_b32_e32 v135, 16, v102
	s_waitcnt vmcnt(13)
	v_mul_f16_sdwa v136, v102, v118 dst_sel:DWORD dst_unused:UNUSED_PAD src0_sel:DWORD src1_sel:WORD_1
	v_lshrrev_b32_e32 v137, 16, v103
	s_waitcnt vmcnt(12)
	v_mul_f16_sdwa v138, v103, v119 dst_sel:DWORD dst_unused:UNUSED_PAD src0_sel:DWORD src1_sel:WORD_1
	;; [unrolled: 7-line block ×7, first 2 shown]
	s_waitcnt lgkmcnt(0)
	v_lshrrev_b32_e32 v159, 16, v114
	s_waitcnt vmcnt(1)
	v_mul_f16_sdwa v160, v114, v130 dst_sel:DWORD dst_unused:UNUSED_PAD src0_sel:DWORD src1_sel:WORD_1
	v_lshrrev_b32_e32 v161, 16, v115
	v_mul_f16_sdwa v163, v82, v116 dst_sel:DWORD dst_unused:UNUSED_PAD src0_sel:DWORD src1_sel:WORD_1
	v_fmac_f16_e32 v132, v82, v116
	v_mul_f16_sdwa v82, v133, v117 dst_sel:DWORD dst_unused:UNUSED_PAD src0_sel:DWORD src1_sel:WORD_1
	v_fmac_f16_e32 v134, v133, v117
	;; [unrolled: 2-line block ×9, first 2 shown]
	v_mul_f16_sdwa v147, v149, v125 dst_sel:DWORD dst_unused:UNUSED_PAD src0_sel:DWORD src1_sel:WORD_1
	s_waitcnt vmcnt(0)
	v_mul_f16_sdwa v162, v115, v131 dst_sel:DWORD dst_unused:UNUSED_PAD src0_sel:DWORD src1_sel:WORD_1
	v_fmac_f16_e32 v150, v149, v125
	v_mul_f16_sdwa v149, v151, v126 dst_sel:DWORD dst_unused:UNUSED_PAD src0_sel:DWORD src1_sel:WORD_1
	v_fmac_f16_e32 v152, v151, v126
	;; [unrolled: 2-line block ×6, first 2 shown]
	v_mul_f16_sdwa v159, v161, v131 dst_sel:DWORD dst_unused:UNUSED_PAD src0_sel:DWORD src1_sel:WORD_1
	v_fma_f16 v100, v100, v116, -v163
	v_fma_f16 v82, v101, v117, -v82
	;; [unrolled: 1-line block ×10, first 2 shown]
	v_fmac_f16_e32 v162, v161, v131
	v_fma_f16 v109, v110, v126, -v149
	v_fma_f16 v110, v111, v127, -v151
	;; [unrolled: 1-line block ×6, first 2 shown]
	v_pack_b32_f16 v100, v100, v132
	v_pack_b32_f16 v82, v82, v134
	;; [unrolled: 1-line block ×16, first 2 shown]
	ds_write2st64_b32 v72, v100, v82 offset0:1 offset1:2
	ds_write2st64_b32 v72, v101, v102 offset0:3 offset1:4
	;; [unrolled: 1-line block ×8, first 2 shown]
.LBB0_9:
	s_or_b32 exec_lo, exec_lo, s2
	s_waitcnt lgkmcnt(0)
	s_barrier
	buffer_gl0_inv
	s_and_saveexec_b32 s0, vcc_lo
	s_cbranch_execz .LBB0_11
; %bb.10:
	ds_read_b32 v83, v57
	ds_read2st64_b32 v[34:35], v72 offset0:1 offset1:2
	ds_read2st64_b32 v[36:37], v72 offset0:3 offset1:4
	;; [unrolled: 1-line block ×8, first 2 shown]
	s_waitcnt lgkmcnt(8)
	v_lshrrev_b32_e32 v88, 16, v83
	s_waitcnt lgkmcnt(7)
	v_lshrrev_b32_e32 v95, 16, v34
	v_lshrrev_b32_e32 v99, 16, v35
	s_waitcnt lgkmcnt(6)
	v_lshrrev_b32_e32 v94, 16, v36
	;; [unrolled: 3-line block ×8, first 2 shown]
	v_lshrrev_b32_e32 v59, 16, v23
.LBB0_11:
	s_or_b32 exec_lo, exec_lo, s0
	v_add_nc_u32_e32 v82, 0x660, v81
	v_add_nc_u32_e32 v81, 0x770, v81
	s_barrier
	buffer_gl0_inv
	s_and_saveexec_b32 s0, vcc_lo
	s_cbranch_execz .LBB0_13
; %bb.12:
	v_add_f16_e32 v100, v34, v83
	v_sub_f16_e32 v105, v34, v23
	v_add_f16_e32 v107, v23, v34
	v_add_f16_e32 v111, v59, v95
	v_sub_f16_e32 v106, v35, v22
	v_add_f16_e32 v100, v35, v100
	v_mul_f16_e32 v125, 0xb964, v105
	v_add_f16_e32 v113, v84, v99
	v_sub_f16_e32 v104, v36, v25
	v_mul_f16_e32 v131, 0xbbf7, v106
	v_add_f16_e32 v100, v36, v100
	v_fmamk_f16 v115, v111, 0x39e9, v125
	v_add_f16_e32 v112, v86, v94
	v_sub_f16_e32 v103, v37, v24
	v_sub_f16_e32 v102, v32, v27
	v_add_f16_e32 v100, v37, v100
	v_sub_f16_e32 v109, v95, v59
	v_mul_f16_e32 v129, 0xba62, v104
	v_add_f16_e32 v115, v88, v115
	v_sub_f16_e32 v110, v99, v84
	v_add_f16_e32 v100, v32, v100
	v_mul_f16_e32 v123, 0xb964, v109
	v_mul_f16_e32 v130, 0xb1e1, v103
	;; [unrolled: 1-line block ×4, first 2 shown]
	v_add_f16_e32 v108, v33, v100
	v_sub_f16_e32 v100, v33, v26
	v_sub_f16_e32 v101, v30, v29
	v_add_f16_e32 v36, v25, v36
	v_add_f16_e32 v116, v92, v91
	;; [unrolled: 1-line block ×8, first 2 shown]
	v_sub_f16_e32 v34, v31, v28
	v_add_f16_e32 v33, v89, v93
	v_add_f16_e32 v30, v29, v30
	v_mul_f16_e32 v126, 0x3bb2, v100
	v_add_f16_e32 v114, v28, v114
	v_add_f16_e32 v28, v28, v31
	;; [unrolled: 1-line block ×3, first 2 shown]
	v_mul_f16_e32 v128, 0x3b29, v101
	v_sub_f16_e32 v120, v94, v86
	v_add_f16_e32 v114, v29, v114
	v_add_f16_e32 v29, v87, v97
	v_sub_f16_e32 v119, v98, v85
	v_sub_f16_e32 v117, v93, v89
	v_mul_f16_e32 v136, 0xba62, v120
	v_add_f16_e32 v26, v26, v114
	v_fmamk_f16 v114, v113, 0x2de8, v131
	v_mul_f16_e32 v137, 0xb1e1, v119
	v_mul_f16_e32 v134, 0x3836, v117
	;; [unrolled: 1-line block ×3, first 2 shown]
	v_add_f16_e32 v26, v27, v26
	v_fmamk_f16 v27, v112, 0xb8d2, v129
	v_add_f16_e32 v114, v114, v115
	v_fmamk_f16 v115, v33, 0xbacd, v127
	v_mul_f16_e32 v142, 0xba62, v106
	v_add_f16_e32 v24, v24, v26
	v_fma_f16 v26, v107, 0x39e9, -v123
	v_add_f16_e32 v27, v27, v114
	v_fmamk_f16 v114, v31, 0xbbdd, v130
	v_mul_f16_e32 v143, 0x31e1, v104
	v_add_f16_e32 v24, v25, v24
	v_fma_f16 v25, v108, 0x2de8, -v124
	v_add_f16_e32 v26, v83, v26
	v_add_f16_e32 v27, v114, v27
	v_fmamk_f16 v114, v113, 0xb8d2, v142
	v_mul_f16_e32 v144, 0x3bb2, v103
	v_mul_f16_e32 v145, 0x3964, v102
	v_add_f16_e32 v25, v25, v26
	v_fmamk_f16 v26, v29, 0xb461, v126
	v_add_f16_e32 v27, v115, v27
	v_sub_f16_e32 v115, v97, v87
	v_sub_f16_e32 v118, v91, v92
	v_mul_f16_e32 v146, 0xb5c8, v100
	v_mul_f16_e32 v138, 0x35c8, v34
	v_add_f16_e32 v26, v26, v27
	v_fmamk_f16 v27, v116, 0x3722, v128
	v_mul_f16_e32 v135, 0x3bb2, v115
	v_mul_f16_e32 v139, 0x3b29, v118
	v_add_f16_e32 v122, v90, v96
	v_sub_f16_e32 v121, v96, v90
	v_add_f16_e32 v26, v27, v26
	v_fma_f16 v27, v36, 0xb8d2, -v136
	v_mul_f16_e32 v147, 0xbbf7, v101
	v_mul_f16_e32 v148, 0xbb29, v109
	;; [unrolled: 1-line block ×4, first 2 shown]
	v_add_f16_e32 v25, v27, v25
	v_fma_f16 v27, v35, 0xbbdd, -v137
	v_mul_f16_e32 v150, 0x31e1, v120
	v_mul_f16_e32 v151, 0xbbf7, v105
	v_fma_f16 v132, v108, 0xb8d2, -v149
	v_mul_f16_e32 v152, 0xb1e1, v106
	v_add_f16_e32 v25, v27, v25
	v_fma_f16 v27, v37, 0xbacd, -v134
	v_mul_f16_e32 v153, 0x3bb2, v119
	v_mul_f16_e32 v154, 0x3bb2, v104
	v_fmamk_f16 v133, v113, 0xbbdd, v152
	v_mul_f16_e32 v155, 0x3964, v117
	v_add_f16_e32 v25, v27, v25
	v_fmamk_f16 v27, v111, 0x3722, v141
	v_mul_f16_e32 v156, 0x35c8, v103
	v_mul_f16_e32 v157, 0xb5c8, v115
	;; [unrolled: 1-line block ×4, first 2 shown]
	v_add_f16_e32 v27, v88, v27
	v_mul_f16_e32 v160, 0xb836, v100
	v_mul_f16_e32 v161, 0xb836, v34
	;; [unrolled: 1-line block ×4, first 2 shown]
	v_add_f16_e32 v27, v114, v27
	v_fma_f16 v114, v32, 0xb461, -v135
	v_mul_f16_e32 v164, 0xbbf7, v109
	v_mul_f16_e32 v165, 0xb1e1, v110
	;; [unrolled: 1-line block ×4, first 2 shown]
	v_add_f16_e32 v25, v114, v25
	v_fmamk_f16 v114, v112, 0xbbdd, v143
	v_fma_f16 v166, v108, 0xbbdd, -v165
	v_fmamk_f16 v170, v113, 0xbacd, v169
	v_fma_f16 v184, v108, 0xbacd, -v183
	v_mul_f16_e32 v187, 0x3bb2, v106
	v_add_f16_e32 v27, v114, v27
	v_fmamk_f16 v114, v31, 0xb461, v144
	v_mul_f16_e32 v201, 0x3bb2, v110
	v_mul_f16_e32 v205, 0x3b29, v106
	v_fmamk_f16 v188, v113, 0xb461, v187
	v_mul_f16_e32 v219, 0x3b29, v110
	v_add_f16_e32 v27, v114, v27
	v_fmamk_f16 v114, v33, 0x39e9, v145
	v_fma_f16 v202, v108, 0xb461, -v201
	v_fmamk_f16 v206, v113, 0x3722, v205
	v_fma_f16 v220, v108, 0x3722, -v219
	v_mul_f16_e32 v222, 0x35c8, v106
	v_add_f16_e32 v27, v114, v27
	v_fma_f16 v114, v30, 0x3722, -v139
	v_fma_f16 v125, v111, 0x39e9, -v125
	;; [unrolled: 1-line block ×3, first 2 shown]
	v_fmamk_f16 v223, v113, 0x3b76, v222
	v_fma_f16 v129, v112, 0xb8d2, -v129
	v_add_f16_e32 v114, v114, v25
	v_fmamk_f16 v25, v29, 0x3b76, v146
	v_add_f16_e32 v125, v88, v125
	v_fmac_f16_e32 v123, 0x39e9, v107
	v_fma_f16 v130, v31, 0xbbdd, -v130
	v_fmac_f16_e32 v124, 0x2de8, v108
	v_add_f16_e32 v27, v25, v27
	v_fmamk_f16 v25, v122, 0x3b76, v138
	v_add_f16_e32 v125, v131, v125
	v_add_f16_e32 v123, v83, v123
	v_fma_f16 v141, v111, 0x3722, -v141
	v_add_f16_e32 v95, v95, v88
	v_add_f16_e32 v25, v25, v26
	v_fma_f16 v26, v28, 0x3b76, -v140
	;; [unrolled: 3-line block ×3, first 2 shown]
	v_fma_f16 v222, v113, 0x3b76, -v222
	v_add_f16_e32 v26, v26, v114
	v_fmamk_f16 v114, v116, 0x2de8, v147
	v_add_f16_e32 v125, v130, v125
	v_fma_f16 v205, v113, 0x3722, -v205
	v_fma_f16 v187, v113, 0xb461, -v187
	;; [unrolled: 1-line block ×3, first 2 shown]
	v_add_f16_e32 v27, v114, v27
	v_fma_f16 v114, v107, 0x3722, -v148
	v_add_f16_e32 v124, v124, v125
	v_fma_f16 v125, v29, 0xb461, -v126
	v_fma_f16 v152, v113, 0xbbdd, -v152
	;; [unrolled: 1-line block ×3, first 2 shown]
	v_add_f16_e32 v114, v83, v114
	v_mul_f16_e32 v113, 0x39e9, v113
	v_add_f16_e32 v124, v125, v124
	v_add_f16_e32 v95, v99, v95
	v_mul_f16_e32 v238, 0x35c8, v110
	v_add_f16_e32 v114, v132, v114
	v_fma_f16 v132, v36, 0xbbdd, -v150
	v_add_f16_e32 v141, v88, v141
	v_fmac_f16_e32 v136, 0xb8d2, v36
	v_fmamk_f16 v126, v106, 0x3964, v113
	v_add_f16_e32 v94, v94, v95
	v_add_f16_e32 v114, v132, v114
	v_fmamk_f16 v132, v111, 0x2de8, v151
	v_fma_f16 v151, v111, 0x2de8, -v151
	v_fma_f16 v239, v108, 0x3b76, -v238
	v_add_f16_e32 v141, v142, v141
	v_fma_f16 v143, v112, 0xbbdd, -v143
	v_add_f16_e32 v132, v88, v132
	v_add_f16_e32 v151, v88, v151
	;; [unrolled: 1-line block ×3, first 2 shown]
	v_fmac_f16_e32 v137, 0xbbdd, v35
	v_add_f16_e32 v94, v98, v94
	v_add_f16_e32 v132, v133, v132
	v_fma_f16 v133, v35, 0xb461, -v153
	v_add_f16_e32 v151, v152, v151
	v_add_f16_e32 v141, v143, v141
	v_fma_f16 v144, v31, 0xb461, -v144
	v_add_f16_e32 v123, v137, v123
	v_add_f16_e32 v114, v133, v114
	v_fmamk_f16 v133, v112, 0xb461, v154
	v_fma_f16 v154, v112, 0xb461, -v154
	v_fmac_f16_e32 v134, 0xbacd, v37
	v_add_f16_e32 v93, v93, v94
	v_fmac_f16_e32 v238, 0x3b76, v108
	v_add_f16_e32 v132, v133, v132
	v_fma_f16 v133, v37, 0x39e9, -v155
	v_add_f16_e32 v151, v154, v151
	v_fmac_f16_e32 v183, 0xbacd, v108
	v_add_f16_e32 v141, v144, v141
	v_fma_f16 v144, v33, 0x39e9, -v145
	v_add_f16_e32 v114, v133, v114
	v_fmamk_f16 v133, v31, 0x3b76, v156
	v_fma_f16 v156, v31, 0x3b76, -v156
	v_add_f16_e32 v123, v134, v123
	v_fmac_f16_e32 v135, 0xb461, v32
	v_add_f16_e32 v93, v97, v93
	v_add_f16_e32 v132, v133, v132
	v_fma_f16 v133, v32, 0x3b76, -v157
	v_add_f16_e32 v151, v156, v151
	v_fma_f16 v156, v33, 0x3722, -v158
	;; [unrolled: 2-line block ×3, first 2 shown]
	v_add_f16_e32 v114, v133, v114
	v_fmamk_f16 v133, v33, 0x3722, v158
	v_fma_f16 v158, v29, 0xbacd, -v160
	v_add_f16_e32 v123, v135, v123
	v_fmac_f16_e32 v139, 0x3722, v30
	v_mul_f16_e32 v94, 0xb5c8, v109
	v_add_f16_e32 v132, v133, v132
	v_fma_f16 v133, v30, 0x2de8, -v159
	v_add_f16_e32 v91, v91, v93
	v_add_f16_e32 v151, v156, v151
	;; [unrolled: 1-line block ×3, first 2 shown]
	v_fmac_f16_e32 v140, 0x3b76, v28
	v_add_f16_e32 v114, v133, v114
	v_fmamk_f16 v133, v29, 0xbacd, v160
	v_mul_f16_e32 v97, 0xbacd, v116
	v_add_f16_e32 v91, v96, v91
	v_fmac_f16_e32 v148, 0x3722, v107
	v_add_f16_e32 v151, v158, v151
	v_add_f16_e32 v132, v133, v132
	v_fmamk_f16 v133, v122, 0xbacd, v161
	v_fma_f16 v158, v116, 0xb8d2, -v163
	v_add_f16_e32 v141, v144, v141
	v_fma_f16 v144, v116, 0x2de8, -v147
	v_add_f16_e32 v95, v140, v123
	v_add_f16_e32 v27, v133, v27
	v_fma_f16 v133, v28, 0xbacd, -v162
	v_mul_f16_e32 v93, 0xbb29, v120
	v_add_f16_e32 v90, v90, v91
	v_add_f16_e32 v143, v83, v148
	v_fmac_f16_e32 v149, 0xb8d2, v108
	v_add_f16_e32 v114, v133, v114
	v_fmamk_f16 v133, v116, 0xb8d2, v163
	v_fmac_f16_e32 v165, 0xbbdd, v108
	v_fmac_f16_e32 v219, 0x3722, v108
	;; [unrolled: 1-line block ×4, first 2 shown]
	v_add_f16_e32 v132, v133, v132
	v_fma_f16 v133, v107, 0x2de8, -v164
	v_fmac_f16_e32 v164, 0x2de8, v107
	v_mul_f16_e32 v96, 0xbbf7, v119
	v_add_f16_e32 v90, v92, v90
	v_add_f16_e32 v143, v149, v143
	;; [unrolled: 1-line block ×4, first 2 shown]
	v_fmac_f16_e32 v150, 0xbbdd, v36
	v_mul_f16_e32 v91, 0xbbb2, v117
	v_add_f16_e32 v87, v87, v90
	v_add_f16_e32 v133, v166, v133
	v_mul_f16_e32 v166, 0x3bb2, v120
	v_add_f16_e32 v156, v165, v156
	v_add_f16_e32 v143, v150, v143
	v_fmac_f16_e32 v153, 0xb461, v35
	v_fmamk_f16 v106, v37, 0xb461, v91
	v_fma_f16 v167, v36, 0xb461, -v166
	v_fmac_f16_e32 v166, 0xb461, v36
	v_mul_f16_e32 v90, 0xba62, v115
	v_add_f16_e32 v87, v89, v87
	v_add_f16_e32 v143, v153, v143
	;; [unrolled: 1-line block ×3, first 2 shown]
	v_mul_f16_e32 v167, 0xbbb2, v105
	v_add_f16_e32 v156, v166, v156
	v_fmac_f16_e32 v155, 0x39e9, v37
	v_add_f16_e32 v85, v85, v87
	v_fmac_f16_e32 v157, 0x3b76, v32
	v_fmamk_f16 v168, v111, 0xb461, v167
	v_fma_f16 v167, v111, 0xb461, -v167
	v_add_f16_e32 v143, v155, v143
	v_mul_f16_e32 v92, 0xbbdd, v122
	v_fmac_f16_e32 v159, 0x2de8, v30
	v_add_f16_e32 v168, v88, v168
	v_add_f16_e32 v167, v88, v167
	;; [unrolled: 1-line block ×6, first 2 shown]
	v_mul_f16_e32 v170, 0x35c8, v119
	v_add_f16_e32 v167, v169, v167
	v_fma_f16 v143, v122, 0xbacd, -v161
	v_add_f16_e32 v129, v159, v131
	v_fmac_f16_e32 v162, 0xbacd, v28
	v_fma_f16 v171, v35, 0x3b76, -v170
	v_fmac_f16_e32 v170, 0x3b76, v35
	v_fma_f16 v99, v122, 0x3b76, -v138
	v_add_f16_e32 v151, v158, v151
	v_add_f16_e32 v22, v23, v22
	;; [unrolled: 1-line block ×3, first 2 shown]
	v_mul_f16_e32 v171, 0x3964, v104
	v_add_f16_e32 v156, v170, v156
	v_add_f16_e32 v141, v143, v141
	;; [unrolled: 1-line block ×3, first 2 shown]
	v_pack_b32_f16 v25, v26, v25
	v_fmamk_f16 v172, v112, 0x39e9, v171
	v_fma_f16 v171, v112, 0x39e9, -v171
	v_pack_b32_f16 v26, v114, v27
	v_add_f16_e32 v168, v172, v168
	v_mul_f16_e32 v172, 0xbb29, v117
	v_add_f16_e32 v167, v171, v167
	v_fma_f16 v173, v37, 0x3722, -v172
	v_fmac_f16_e32 v172, 0x3722, v37
	v_add_f16_e32 v133, v173, v133
	v_mul_f16_e32 v173, 0xbb29, v103
	v_add_f16_e32 v142, v172, v156
	v_fmamk_f16 v174, v31, 0x3722, v173
	v_fma_f16 v171, v31, 0x3722, -v173
	v_add_f16_e32 v168, v174, v168
	v_mul_f16_e32 v174, 0xb836, v115
	v_add_f16_e32 v167, v171, v167
	v_fma_f16 v175, v32, 0xbacd, -v174
	v_fmac_f16_e32 v174, 0xbacd, v32
	v_add_f16_e32 v133, v175, v133
	v_mul_f16_e32 v175, 0xb1e1, v102
	v_add_f16_e32 v142, v174, v142
	v_fmamk_f16 v176, v33, 0xbbdd, v175
	v_fma_f16 v173, v33, 0xbbdd, -v175
	;; [unrolled: 10-line block ×3, first 2 shown]
	v_add_f16_e32 v168, v178, v168
	v_mul_f16_e32 v178, 0x3964, v34
	v_add_f16_e32 v167, v173, v167
	v_fmamk_f16 v179, v122, 0x39e9, v178
	v_fma_f16 v158, v122, 0x39e9, -v178
	v_add_f16_e32 v132, v179, v132
	v_mul_f16_e32 v179, 0x3964, v121
	v_add_f16_e32 v151, v158, v151
	v_fma_f16 v180, v28, 0x39e9, -v179
	v_fmac_f16_e32 v179, 0x39e9, v28
	v_add_f16_e32 v133, v180, v133
	v_mul_f16_e32 v180, 0xb5c8, v101
	v_add_f16_e32 v142, v179, v142
	v_fmamk_f16 v181, v116, 0x3b76, v180
	v_add_f16_e32 v168, v181, v168
	v_mul_f16_e32 v181, 0xbbb2, v109
	v_fma_f16 v182, v107, 0xb461, -v181
	v_fmac_f16_e32 v181, 0xb461, v107
	v_add_f16_e32 v182, v83, v182
	v_add_f16_e32 v171, v83, v181
	;; [unrolled: 1-line block ×3, first 2 shown]
	v_mul_f16_e32 v184, 0x3964, v120
	v_add_f16_e32 v171, v183, v171
	v_fma_f16 v185, v36, 0x39e9, -v184
	v_fmac_f16_e32 v184, 0x39e9, v36
	v_add_f16_e32 v182, v185, v182
	v_mul_f16_e32 v185, 0xba62, v105
	v_add_f16_e32 v171, v184, v171
	v_fmamk_f16 v186, v111, 0xb8d2, v185
	v_fma_f16 v185, v111, 0xb8d2, -v185
	v_add_f16_e32 v186, v88, v186
	v_add_f16_e32 v185, v88, v185
	;; [unrolled: 1-line block ×3, first 2 shown]
	v_mul_f16_e32 v188, 0xbb29, v119
	v_add_f16_e32 v185, v187, v185
	v_fma_f16 v189, v35, 0x3722, -v188
	v_fmac_f16_e32 v188, 0x3722, v35
	v_add_f16_e32 v182, v189, v182
	v_mul_f16_e32 v189, 0xb5c8, v104
	v_add_f16_e32 v152, v188, v171
	v_fma_f16 v171, v116, 0x3b76, -v180
	v_fmamk_f16 v190, v112, 0x3b76, v189
	v_fma_f16 v189, v112, 0x3b76, -v189
	v_add_f16_e32 v167, v171, v167
	v_add_f16_e32 v186, v190, v186
	v_mul_f16_e32 v190, 0xb1e1, v117
	v_add_f16_e32 v185, v189, v185
	v_fma_f16 v191, v37, 0xbbdd, -v190
	v_fmac_f16_e32 v190, 0xbbdd, v37
	v_add_f16_e32 v182, v191, v182
	v_mul_f16_e32 v191, 0xb836, v103
	v_add_f16_e32 v152, v190, v152
	v_fmamk_f16 v192, v31, 0xbacd, v191
	v_fma_f16 v191, v31, 0xbacd, -v191
	v_add_f16_e32 v186, v192, v186
	v_mul_f16_e32 v192, 0x3bf7, v115
	v_add_f16_e32 v185, v191, v185
	v_fma_f16 v193, v32, 0x2de8, -v192
	v_fmac_f16_e32 v192, 0x2de8, v32
	v_add_f16_e32 v182, v193, v182
	v_mul_f16_e32 v193, 0x3bf7, v102
	v_add_f16_e32 v152, v192, v152
	v_fmamk_f16 v194, v33, 0x2de8, v193
	v_fma_f16 v191, v33, 0x2de8, -v193
	;; [unrolled: 10-line block ×3, first 2 shown]
	v_add_f16_e32 v186, v196, v186
	v_mul_f16_e32 v196, 0xba62, v34
	v_add_f16_e32 v185, v191, v185
	v_fmamk_f16 v197, v122, 0xb8d2, v196
	v_fma_f16 v154, v122, 0xb8d2, -v196
	v_add_f16_e32 v168, v197, v168
	v_mul_f16_e32 v197, 0xba62, v121
	v_add_f16_e32 v154, v154, v167
	v_fma_f16 v198, v28, 0xb8d2, -v197
	v_fmac_f16_e32 v197, 0xb8d2, v28
	v_add_f16_e32 v182, v198, v182
	v_mul_f16_e32 v198, 0xb1e1, v101
	v_add_f16_e32 v152, v197, v152
	v_fmamk_f16 v199, v116, 0xbbdd, v198
	v_fma_f16 v191, v116, 0xbbdd, -v198
	v_add_f16_e32 v186, v199, v186
	v_mul_f16_e32 v199, 0xba62, v109
	v_add_f16_e32 v185, v191, v185
	v_fma_f16 v200, v107, 0xb8d2, -v199
	v_fmac_f16_e32 v199, 0xb8d2, v107
	v_add_f16_e32 v200, v83, v200
	v_add_f16_e32 v189, v83, v199
	;; [unrolled: 1-line block ×3, first 2 shown]
	v_mul_f16_e32 v202, 0xb5c8, v120
	v_add_f16_e32 v189, v201, v189
	v_fma_f16 v203, v36, 0x3b76, -v202
	v_fmac_f16_e32 v202, 0x3b76, v36
	v_add_f16_e32 v200, v203, v200
	v_mul_f16_e32 v203, 0xb836, v105
	v_add_f16_e32 v189, v202, v189
	v_fmamk_f16 v204, v111, 0xbacd, v203
	v_fma_f16 v203, v111, 0xbacd, -v203
	v_add_f16_e32 v204, v88, v204
	v_add_f16_e32 v203, v88, v203
	;; [unrolled: 1-line block ×3, first 2 shown]
	v_mul_f16_e32 v206, 0xb836, v119
	v_add_f16_e32 v203, v205, v203
	v_fma_f16 v207, v35, 0xbacd, -v206
	v_fmac_f16_e32 v206, 0xbacd, v35
	v_add_f16_e32 v200, v207, v200
	v_mul_f16_e32 v207, 0xbbf7, v104
	v_add_f16_e32 v189, v206, v189
	v_fmamk_f16 v208, v112, 0x2de8, v207
	v_fma_f16 v207, v112, 0x2de8, -v207
	v_add_f16_e32 v204, v208, v204
	v_mul_f16_e32 v208, 0x3bf7, v117
	v_add_f16_e32 v203, v207, v203
	v_fma_f16 v209, v37, 0x2de8, -v208
	v_fmac_f16_e32 v208, 0x2de8, v37
	v_add_f16_e32 v200, v209, v200
	v_mul_f16_e32 v209, 0x3a62, v103
	v_add_f16_e32 v189, v208, v189
	v_fmamk_f16 v210, v31, 0xb8d2, v209
	v_fma_f16 v209, v31, 0xb8d2, -v209
	v_add_f16_e32 v204, v210, v204
	;; [unrolled: 10-line block ×4, first 2 shown]
	v_mul_f16_e32 v214, 0xb1e1, v100
	v_add_f16_e32 v185, v189, v185
	v_fmamk_f16 v215, v29, 0xbbdd, v214
	v_fma_f16 v211, v29, 0xbbdd, -v214
	v_add_f16_e32 v204, v215, v204
	v_mul_f16_e32 v215, 0x3b29, v121
	v_add_f16_e32 v203, v211, v203
	v_fma_f16 v216, v28, 0x3722, -v215
	v_fmac_f16_e32 v215, 0x3722, v28
	v_add_f16_e32 v200, v216, v200
	v_mul_f16_e32 v216, 0x3964, v101
	v_add_f16_e32 v169, v215, v169
	v_fmamk_f16 v217, v116, 0x39e9, v216
	v_fma_f16 v211, v116, 0x39e9, -v216
	v_add_f16_e32 v204, v217, v204
	v_mul_f16_e32 v217, 0xb836, v109
	v_add_f16_e32 v203, v211, v203
	v_fma_f16 v218, v107, 0xbacd, -v217
	v_fmac_f16_e32 v217, 0xbacd, v107
	v_add_f16_e32 v218, v83, v218
	v_add_f16_e32 v209, v83, v217
	v_add_f16_e32 v218, v220, v218
	v_mul_f16_e32 v220, 0xb1e1, v105
	v_add_f16_e32 v209, v219, v209
	v_fmamk_f16 v221, v111, 0xbbdd, v220
	v_fma_f16 v220, v111, 0xbbdd, -v220
	v_mul_f16_e32 v111, 0x3b76, v111
	v_add_f16_e32 v221, v88, v221
	v_add_f16_e32 v220, v88, v220
	v_fmamk_f16 v125, v105, 0x35c8, v111
	v_fmac_f16_e32 v111, 0xb5c8, v105
	v_fmamk_f16 v105, v35, 0x2de8, v96
	v_add_f16_e32 v221, v223, v221
	v_mul_f16_e32 v223, 0xbbf7, v120
	v_add_f16_e32 v220, v222, v220
	v_add_f16_e32 v125, v88, v125
	;; [unrolled: 1-line block ×3, first 2 shown]
	v_fma_f16 v224, v36, 0x2de8, -v223
	v_fmac_f16_e32 v223, 0x2de8, v36
	v_add_f16_e32 v125, v126, v125
	v_fma_f16 v126, v116, 0x3722, -v128
	v_add_f16_e32 v88, v113, v88
	v_add_f16_e32 v218, v224, v218
	v_mul_f16_e32 v224, 0xb836, v104
	v_add_f16_e32 v209, v223, v209
	v_add_f16_e32 v124, v126, v124
	v_fmamk_f16 v225, v112, 0xbacd, v224
	v_fma_f16 v222, v112, 0xbacd, -v224
	v_mul_f16_e32 v112, 0x3722, v112
	v_add_f16_e32 v99, v99, v124
	v_add_f16_e32 v221, v225, v221
	v_mul_f16_e32 v225, 0x3a62, v119
	v_add_f16_e32 v220, v222, v220
	v_fmamk_f16 v126, v104, 0x3b29, v112
	v_fmac_f16_e32 v112, 0xbb29, v104
	v_fmamk_f16 v104, v34, 0x31e1, v92
	v_fma_f16 v226, v35, 0xb8d2, -v225
	v_fmac_f16_e32 v225, 0xb8d2, v35
	v_add_f16_e32 v125, v126, v125
	v_add_f16_e32 v88, v112, v88
	v_fmac_f16_e32 v92, 0xb1e1, v34
	v_add_f16_e32 v218, v226, v218
	v_mul_f16_e32 v226, 0x3964, v103
	v_add_f16_e32 v209, v225, v209
	v_fmamk_f16 v227, v31, 0x39e9, v226
	v_fma_f16 v222, v31, 0x39e9, -v226
	v_mul_f16_e32 v31, 0x2de8, v31
	v_add_f16_e32 v221, v227, v221
	v_mul_f16_e32 v227, 0xb5c8, v117
	v_add_f16_e32 v220, v222, v220
	v_fmamk_f16 v126, v103, 0x3bf7, v31
	v_fmac_f16_e32 v31, 0xbbf7, v103
	v_fmamk_f16 v103, v32, 0xb8d2, v90
	v_fma_f16 v228, v37, 0x3b76, -v227
	v_fmac_f16_e32 v227, 0x3b76, v37
	v_add_f16_e32 v125, v126, v125
	v_add_f16_e32 v31, v31, v88
	v_mul_f16_e32 v88, 0xb836, v118
	v_add_f16_e32 v218, v228, v218
	v_mul_f16_e32 v228, 0xba62, v102
	v_add_f16_e32 v187, v227, v209
	v_fmamk_f16 v89, v30, 0xbacd, v88
	v_fmamk_f16 v229, v33, 0xb8d2, v228
	v_fma_f16 v222, v33, 0xb8d2, -v228
	v_mul_f16_e32 v33, 0xb461, v33
	v_add_f16_e32 v221, v229, v221
	v_mul_f16_e32 v229, 0xb1e1, v115
	v_add_f16_e32 v220, v222, v220
	v_fmamk_f16 v126, v102, 0x3bb2, v33
	v_fmac_f16_e32 v33, 0xbbb2, v102
	v_fma_f16 v230, v32, 0xbbdd, -v229
	v_fmac_f16_e32 v229, 0xbbdd, v32
	v_add_f16_e32 v125, v126, v125
	v_add_f16_e32 v31, v33, v31
	;; [unrolled: 1-line block ×3, first 2 shown]
	v_mul_f16_e32 v230, 0x3b29, v100
	v_add_f16_e32 v187, v229, v187
	v_fmamk_f16 v231, v29, 0x3722, v230
	v_fma_f16 v224, v29, 0x3722, -v230
	v_mul_f16_e32 v29, 0xb8d2, v29
	v_add_f16_e32 v221, v231, v221
	v_mul_f16_e32 v231, 0xbbb2, v34
	v_fmamk_f16 v98, v100, 0x3a62, v29
	v_fmac_f16_e32 v29, 0xba62, v100
	v_add_f16_e32 v220, v224, v220
	v_fmamk_f16 v232, v122, 0xb461, v231
	v_add_f16_e32 v98, v98, v125
	v_add_f16_e32 v29, v29, v31
	v_fma_f16 v31, v32, 0xb8d2, -v90
	v_fma_f16 v211, v122, 0xb461, -v231
	v_add_f16_e32 v204, v232, v204
	v_mul_f16_e32 v232, 0x3964, v118
	v_add_f16_e32 v203, v211, v203
	v_fma_f16 v233, v30, 0x39e9, -v232
	v_fmac_f16_e32 v232, 0x39e9, v30
	v_add_f16_e32 v218, v233, v218
	v_mul_f16_e32 v233, 0xbbb2, v101
	v_add_f16_e32 v187, v232, v187
	v_fmamk_f16 v234, v116, 0xb461, v233
	v_add_f16_e32 v221, v234, v221
	v_mul_f16_e32 v234, 0xbbb2, v121
	v_fma_f16 v235, v28, 0xb461, -v234
	v_fmac_f16_e32 v234, 0xb461, v28
	v_add_f16_e32 v218, v235, v218
	v_mul_f16_e32 v235, 0x3bf7, v34
	v_add_f16_e32 v187, v234, v187
	v_pack_b32_f16 v34, v142, v151
	v_fmamk_f16 v236, v122, 0x2de8, v235
	v_fma_f16 v207, v122, 0x2de8, -v235
	v_add_f16_e32 v221, v236, v221
	v_mul_f16_e32 v236, 0xb1e1, v109
	v_mul_f16_e32 v109, 0xb964, v110
	v_fmamk_f16 v110, v107, 0x3b76, v94
	v_fma_f16 v94, v107, 0x3b76, -v94
	v_fma_f16 v237, v107, 0xbbdd, -v236
	v_fmac_f16_e32 v236, 0xbbdd, v107
	v_add_f16_e32 v110, v83, v110
	v_fmamk_f16 v123, v108, 0x39e9, v109
	v_add_f16_e32 v237, v83, v237
	v_add_f16_e32 v222, v83, v236
	;; [unrolled: 1-line block ×4, first 2 shown]
	v_fma_f16 v94, v108, 0x39e9, -v109
	v_add_f16_e32 v237, v239, v237
	v_mul_f16_e32 v239, 0xb836, v120
	v_add_f16_e32 v222, v238, v222
	v_add_f16_e32 v83, v94, v83
	v_fma_f16 v240, v36, 0xbacd, -v239
	v_fmac_f16_e32 v239, 0xbacd, v36
	v_add_f16_e32 v237, v240, v237
	v_mul_f16_e32 v240, 0x3964, v119
	v_add_f16_e32 v222, v239, v222
	v_fma_f16 v241, v35, 0x39e9, -v240
	v_fmac_f16_e32 v240, 0x39e9, v35
	v_fma_f16 v35, v35, 0x2de8, -v96
	v_add_f16_e32 v237, v241, v237
	v_mul_f16_e32 v241, 0xba62, v117
	v_add_f16_e32 v205, v240, v222
	v_fma_f16 v222, v116, 0xb461, -v233
	v_fmamk_f16 v116, v101, 0x3836, v97
	v_fmac_f16_e32 v97, 0xb836, v101
	v_fma_f16 v242, v37, 0xb8d2, -v241
	v_fmac_f16_e32 v241, 0xb8d2, v37
	v_add_f16_e32 v220, v222, v220
	v_add_f16_e32 v98, v116, v98
	v_fmamk_f16 v116, v36, 0x3722, v93
	v_add_f16_e32 v237, v242, v237
	v_mul_f16_e32 v242, 0x3b29, v115
	v_fma_f16 v36, v36, 0x3722, -v93
	v_add_f16_e32 v205, v241, v205
	v_add_f16_e32 v110, v116, v110
	v_mul_f16_e32 v93, 0xb1e1, v121
	v_fma_f16 v243, v32, 0x3722, -v242
	v_add_f16_e32 v36, v36, v83
	v_fmac_f16_e32 v242, 0x3722, v32
	v_add_f16_e32 v105, v105, v110
	v_fmamk_f16 v83, v28, 0xbbdd, v93
	v_add_f16_e32 v237, v243, v237
	v_mul_f16_e32 v243, 0xbbb2, v118
	v_add_f16_e32 v35, v35, v36
	v_add_f16_e32 v105, v106, v105
	v_fma_f16 v36, v37, 0xb461, -v91
	v_add_f16_e32 v37, v86, v85
	v_fma_f16 v244, v30, 0xb461, -v243
	v_add_f16_e32 v205, v242, v205
	v_add_f16_e32 v103, v103, v105
	;; [unrolled: 1-line block ×3, first 2 shown]
	v_fmac_f16_e32 v243, 0xb461, v30
	v_add_f16_e32 v237, v244, v237
	v_mul_f16_e32 v244, 0x3bf7, v121
	v_add_f16_e32 v89, v89, v103
	v_add_f16_e32 v32, v84, v37
	v_mul_lo_u16 v35, v56, 17
	v_add_f16_e32 v24, v31, v24
	v_fma_f16 v30, v30, 0xbacd, -v88
	v_fma_f16 v245, v28, 0x2de8, -v244
	v_add_f16_e32 v205, v243, v205
	v_fmac_f16_e32 v244, 0x2de8, v28
	v_add_f16_e32 v98, v104, v98
	v_add_f16_e32 v33, v83, v89
	v_and_b32_e32 v23, 0xffff, v35
	v_add_f16_e32 v31, v59, v32
	v_add_f16_e32 v29, v97, v29
	;; [unrolled: 1-line block ×3, first 2 shown]
	v_fma_f16 v28, v28, 0xbbdd, -v93
	v_add_f16_e32 v237, v245, v237
	v_add_f16_e32 v207, v207, v220
	v_add_f16_e32 v205, v244, v205
	v_lshl_add_u32 v23, v23, 2, v58
	v_pack_b32_f16 v30, v33, v98
	v_pack_b32_f16 v22, v22, v31
	;; [unrolled: 1-line block ×7, first 2 shown]
	v_add_f16_e32 v29, v92, v29
	v_add_f16_e32 v24, v28, v24
	ds_write2_b32 v23, v22, v30 offset1:1
	ds_write2_b32 v23, v32, v31 offset0:2 offset1:3
	ds_write2_b32 v23, v34, v33 offset0:4 offset1:5
	;; [unrolled: 1-line block ×3, first 2 shown]
	v_pack_b32_f16 v22, v237, v221
	v_pack_b32_f16 v28, v205, v207
	;; [unrolled: 1-line block ×7, first 2 shown]
	ds_write2_b32 v23, v28, v22 offset0:8 offset1:9
	ds_write2_b32 v23, v31, v30 offset0:10 offset1:11
	;; [unrolled: 1-line block ×4, first 2 shown]
	ds_write_b32 v23, v24 offset:64
.LBB0_13:
	s_or_b32 exec_lo, exec_lo, s0
	v_add_nc_u32_e32 v22, 0x400, v60
	v_add_nc_u32_e32 v24, 0x800, v60
	;; [unrolled: 1-line block ×3, first 2 shown]
	s_waitcnt lgkmcnt(0)
	s_barrier
	buffer_gl0_inv
	ds_read2_b32 v[25:26], v60 offset1:68
	ds_read2_b32 v[27:28], v60 offset0:136 offset1:204
	ds_read2_b32 v[29:30], v22 offset0:16 offset1:84
	;; [unrolled: 1-line block ×7, first 2 shown]
	s_waitcnt lgkmcnt(0)
	s_barrier
	buffer_gl0_inv
	v_lshrrev_b32_e32 v86, 16, v27
	v_lshrrev_b32_e32 v88, 16, v29
	;; [unrolled: 1-line block ×6, first 2 shown]
	v_mul_f16_sdwa v100, v9, v88 dst_sel:DWORD dst_unused:UNUSED_PAD src0_sel:WORD_1 src1_sel:DWORD
	v_mul_f16_sdwa v102, v10, v89 dst_sel:DWORD dst_unused:UNUSED_PAD src0_sel:WORD_1 src1_sel:DWORD
	v_lshrrev_b32_e32 v93, 16, v34
	v_mul_f16_sdwa v101, v9, v29 dst_sel:DWORD dst_unused:UNUSED_PAD src0_sel:WORD_1 src1_sel:DWORD
	v_mul_f16_sdwa v103, v10, v31 dst_sel:DWORD dst_unused:UNUSED_PAD src0_sel:WORD_1 src1_sel:DWORD
	;; [unrolled: 1-line block ×3, first 2 shown]
	v_fmac_f16_e32 v100, v9, v29
	v_fmac_f16_e32 v102, v10, v31
	v_mul_f16_sdwa v29, v11, v33 dst_sel:DWORD dst_unused:UNUSED_PAD src0_sel:WORD_1 src1_sel:DWORD
	v_mul_f16_sdwa v31, v6, v91 dst_sel:DWORD dst_unused:UNUSED_PAD src0_sel:WORD_1 src1_sel:DWORD
	v_lshrrev_b32_e32 v95, 16, v58
	v_fma_f16 v9, v9, v88, -v101
	v_fma_f16 v10, v10, v89, -v103
	v_fmac_f16_e32 v104, v11, v33
	v_mul_f16_sdwa v33, v6, v30 dst_sel:DWORD dst_unused:UNUSED_PAD src0_sel:WORD_1 src1_sel:DWORD
	v_mul_f16_sdwa v88, v7, v92 dst_sel:DWORD dst_unused:UNUSED_PAD src0_sel:WORD_1 src1_sel:DWORD
	;; [unrolled: 1-line block ×3, first 2 shown]
	v_fma_f16 v11, v11, v90, -v29
	v_fmac_f16_e32 v31, v6, v30
	v_mul_f16_sdwa v29, v8, v93 dst_sel:DWORD dst_unused:UNUSED_PAD src0_sel:WORD_1 src1_sel:DWORD
	v_mul_f16_sdwa v30, v8, v34 dst_sel:DWORD dst_unused:UNUSED_PAD src0_sel:WORD_1 src1_sel:DWORD
	v_lshrrev_b32_e32 v94, 16, v35
	v_lshrrev_b32_e32 v98, 16, v59
	v_fmac_f16_e32 v88, v7, v32
	v_fma_f16 v7, v7, v92, -v89
	v_mul_f16_sdwa v89, v4, v95 dst_sel:DWORD dst_unused:UNUSED_PAD src0_sel:WORD_1 src1_sel:DWORD
	v_fmac_f16_e32 v29, v8, v34
	v_fma_f16 v8, v8, v93, -v30
	v_mul_f16_sdwa v30, v4, v58 dst_sel:DWORD dst_unused:UNUSED_PAD src0_sel:WORD_1 src1_sel:DWORD
	v_lshrrev_b32_e32 v96, 16, v83
	v_fma_f16 v6, v6, v91, -v33
	v_mul_f16_sdwa v32, v3, v94 dst_sel:DWORD dst_unused:UNUSED_PAD src0_sel:WORD_1 src1_sel:DWORD
	v_mul_f16_sdwa v33, v3, v35 dst_sel:DWORD dst_unused:UNUSED_PAD src0_sel:WORD_1 src1_sel:DWORD
	v_lshrrev_b32_e32 v97, 16, v36
	v_fmac_f16_e32 v89, v4, v58
	v_fma_f16 v4, v4, v95, -v30
	v_mul_f16_sdwa v30, v1, v98 dst_sel:DWORD dst_unused:UNUSED_PAD src0_sel:WORD_1 src1_sel:DWORD
	v_lshrrev_b32_e32 v99, 16, v84
	v_fmac_f16_e32 v32, v3, v35
	v_fma_f16 v3, v3, v94, -v33
	v_mul_f16_sdwa v33, v5, v96 dst_sel:DWORD dst_unused:UNUSED_PAD src0_sel:WORD_1 src1_sel:DWORD
	v_lshrrev_b32_e32 v37, 16, v25
	v_mul_f16_sdwa v34, v5, v83 dst_sel:DWORD dst_unused:UNUSED_PAD src0_sel:WORD_1 src1_sel:DWORD
	v_mul_f16_sdwa v35, v0, v97 dst_sel:DWORD dst_unused:UNUSED_PAD src0_sel:WORD_1 src1_sel:DWORD
	v_lshrrev_b32_e32 v85, 16, v26
	v_fmac_f16_e32 v30, v1, v59
	v_mul_f16_sdwa v59, v1, v59 dst_sel:DWORD dst_unused:UNUSED_PAD src0_sel:WORD_1 src1_sel:DWORD
	v_mul_f16_sdwa v58, v0, v36 dst_sel:DWORD dst_unused:UNUSED_PAD src0_sel:WORD_1 src1_sel:DWORD
	v_fmac_f16_e32 v33, v5, v83
	v_mul_f16_sdwa v83, v2, v99 dst_sel:DWORD dst_unused:UNUSED_PAD src0_sel:WORD_1 src1_sel:DWORD
	v_mul_f16_sdwa v90, v2, v84 dst_sel:DWORD dst_unused:UNUSED_PAD src0_sel:WORD_1 src1_sel:DWORD
	v_fma_f16 v5, v5, v96, -v34
	v_fmac_f16_e32 v35, v0, v36
	v_sub_f16_e32 v34, v25, v102
	v_sub_f16_e32 v10, v37, v10
	;; [unrolled: 1-line block ×5, first 2 shown]
	v_fma_f16 v1, v1, v98, -v59
	v_sub_f16_e32 v59, v26, v88
	v_sub_f16_e32 v29, v31, v29
	;; [unrolled: 1-line block ×3, first 2 shown]
	v_lshrrev_b32_e32 v87, 16, v28
	v_fma_f16 v0, v0, v97, -v58
	v_fmac_f16_e32 v83, v2, v84
	v_fma_f16 v2, v2, v99, -v90
	v_fma_f16 v25, v25, 2.0, -v34
	v_fma_f16 v37, v37, 2.0, -v10
	;; [unrolled: 1-line block ×5, first 2 shown]
	v_sub_f16_e32 v85, v27, v89
	v_sub_f16_e32 v33, v32, v33
	;; [unrolled: 1-line block ×4, first 2 shown]
	v_fma_f16 v26, v26, 2.0, -v59
	v_fma_f16 v31, v31, 2.0, -v29
	;; [unrolled: 1-line block ×3, first 2 shown]
	v_sub_f16_e32 v30, v28, v30
	v_sub_f16_e32 v1, v87, v1
	;; [unrolled: 1-line block ×6, first 2 shown]
	v_add_f16_e32 v11, v34, v11
	v_sub_f16_e32 v36, v10, v36
	v_fma_f16 v27, v27, 2.0, -v85
	v_fma_f16 v32, v32, 2.0, -v33
	v_fma_f16 v86, v86, 2.0, -v4
	v_fma_f16 v3, v3, 2.0, -v5
	v_sub_f16_e32 v31, v26, v31
	v_sub_f16_e32 v6, v84, v6
	v_add_f16_e32 v8, v59, v8
	v_sub_f16_e32 v29, v7, v29
	v_fma_f16 v28, v28, 2.0, -v30
	v_fma_f16 v87, v87, 2.0, -v1
	;; [unrolled: 1-line block ×8, first 2 shown]
	v_sub_f16_e32 v32, v27, v32
	v_sub_f16_e32 v3, v86, v3
	v_add_f16_e32 v5, v85, v5
	v_sub_f16_e32 v33, v4, v33
	v_fma_f16 v26, v26, 2.0, -v31
	v_fma_f16 v84, v84, 2.0, -v6
	;; [unrolled: 1-line block ×4, first 2 shown]
	v_sub_f16_e32 v35, v28, v35
	v_sub_f16_e32 v0, v87, v0
	v_add_f16_e32 v2, v30, v2
	v_sub_f16_e32 v83, v1, v83
	v_pack_b32_f16 v25, v25, v37
	v_pack_b32_f16 v10, v34, v10
	v_fma_f16 v27, v27, 2.0, -v32
	v_fma_f16 v86, v86, 2.0, -v3
	;; [unrolled: 1-line block ×4, first 2 shown]
	v_pack_b32_f16 v9, v58, v9
	v_pack_b32_f16 v11, v11, v36
	;; [unrolled: 1-line block ×4, first 2 shown]
	v_fma_f16 v28, v28, 2.0, -v35
	v_fma_f16 v87, v87, 2.0, -v0
	;; [unrolled: 1-line block ×4, first 2 shown]
	ds_write2_b32 v67, v25, v10 offset1:17
	ds_write2_b32 v67, v9, v11 offset0:34 offset1:51
	ds_write2_b32 v64, v26, v7 offset1:17
	v_pack_b32_f16 v6, v31, v6
	v_pack_b32_f16 v7, v8, v29
	;; [unrolled: 1-line block ×10, first 2 shown]
	ds_write2_b32 v64, v6, v7 offset0:34 offset1:51
	ds_write2_b32 v63, v8, v4 offset1:17
	ds_write2_b32 v63, v3, v5 offset0:34 offset1:51
	ds_write2_b32 v62, v9, v1 offset1:17
	ds_write2_b32 v62, v0, v2 offset0:34 offset1:51
	s_waitcnt lgkmcnt(0)
	s_barrier
	buffer_gl0_inv
	ds_read2_b32 v[0:1], v60 offset1:68
	ds_read2_b32 v[2:3], v22 offset0:16 offset1:84
	ds_read2_b32 v[4:5], v24 offset0:32 offset1:100
	;; [unrolled: 1-line block ×7, first 2 shown]
	s_waitcnt lgkmcnt(0)
	s_barrier
	buffer_gl0_inv
	v_lshrrev_b32_e32 v29, 16, v0
	v_lshrrev_b32_e32 v30, 16, v2
	;; [unrolled: 1-line block ×6, first 2 shown]
	v_mul_f16_sdwa v84, v18, v30 dst_sel:DWORD dst_unused:UNUSED_PAD src0_sel:WORD_1 src1_sel:DWORD
	v_mul_f16_sdwa v85, v18, v2 dst_sel:DWORD dst_unused:UNUSED_PAD src0_sel:WORD_1 src1_sel:DWORD
	v_mul_f16_sdwa v86, v19, v31 dst_sel:DWORD dst_unused:UNUSED_PAD src0_sel:WORD_1 src1_sel:DWORD
	v_mul_f16_sdwa v87, v19, v4 dst_sel:DWORD dst_unused:UNUSED_PAD src0_sel:WORD_1 src1_sel:DWORD
	v_mul_f16_sdwa v88, v20, v32 dst_sel:DWORD dst_unused:UNUSED_PAD src0_sel:WORD_1 src1_sel:DWORD
	v_lshrrev_b32_e32 v36, 16, v7
	v_lshrrev_b32_e32 v58, 16, v10
	;; [unrolled: 1-line block ×3, first 2 shown]
	v_fmac_f16_e32 v84, v18, v2
	v_fma_f16 v2, v18, v30, -v85
	v_fmac_f16_e32 v86, v19, v4
	v_fma_f16 v4, v19, v31, -v87
	v_fmac_f16_e32 v88, v20, v6
	v_mul_f16_sdwa v6, v20, v6 dst_sel:DWORD dst_unused:UNUSED_PAD src0_sel:WORD_1 src1_sel:DWORD
	v_mul_f16_sdwa v30, v18, v34 dst_sel:DWORD dst_unused:UNUSED_PAD src0_sel:WORD_1 src1_sel:DWORD
	;; [unrolled: 1-line block ×5, first 2 shown]
	v_lshrrev_b32_e32 v62, 16, v27
	v_lshrrev_b32_e32 v64, 16, v11
	v_fma_f16 v6, v20, v32, -v6
	v_fmac_f16_e32 v30, v18, v3
	v_fma_f16 v3, v18, v34, -v31
	v_fmac_f16_e32 v85, v19, v5
	v_fma_f16 v5, v19, v35, -v87
	v_mul_f16_sdwa v18, v20, v36 dst_sel:DWORD dst_unused:UNUSED_PAD src0_sel:WORD_1 src1_sel:DWORD
	v_mul_f16_sdwa v19, v20, v7 dst_sel:DWORD dst_unused:UNUSED_PAD src0_sel:WORD_1 src1_sel:DWORD
	;; [unrolled: 1-line block ×5, first 2 shown]
	v_lshrrev_b32_e32 v67, 16, v26
	v_fmac_f16_e32 v18, v20, v7
	v_fma_f16 v7, v20, v36, -v19
	v_fmac_f16_e32 v31, v15, v10
	v_fma_f16 v10, v15, v58, -v32
	v_fmac_f16_e32 v34, v16, v25
	v_mul_f16_sdwa v15, v16, v25 dst_sel:DWORD dst_unused:UNUSED_PAD src0_sel:WORD_1 src1_sel:DWORD
	v_mul_f16_sdwa v19, v17, v62 dst_sel:DWORD dst_unused:UNUSED_PAD src0_sel:WORD_1 src1_sel:DWORD
	;; [unrolled: 1-line block ×4, first 2 shown]
	v_sub_f16_e32 v4, v29, v4
	v_sub_f16_e32 v6, v2, v6
	v_mul_f16_sdwa v20, v17, v27 dst_sel:DWORD dst_unused:UNUSED_PAD src0_sel:WORD_1 src1_sel:DWORD
	v_fmac_f16_e32 v19, v17, v27
	v_fmac_f16_e32 v25, v12, v11
	v_fma_f16 v11, v12, v64, -v32
	v_mul_f16_sdwa v12, v13, v67 dst_sel:DWORD dst_unused:UNUSED_PAD src0_sel:WORD_1 src1_sel:DWORD
	v_fma_f16 v27, v29, 2.0, -v4
	v_fma_f16 v2, v2, 2.0, -v6
	v_lshrrev_b32_e32 v83, 16, v28
	v_lshrrev_b32_e32 v33, 16, v1
	v_fmac_f16_e32 v12, v13, v26
	v_mul_f16_sdwa v26, v13, v26 dst_sel:DWORD dst_unused:UNUSED_PAD src0_sel:WORD_1 src1_sel:DWORD
	v_sub_f16_e32 v2, v27, v2
	v_mul_f16_sdwa v32, v14, v83 dst_sel:DWORD dst_unused:UNUSED_PAD src0_sel:WORD_1 src1_sel:DWORD
	v_mul_f16_sdwa v35, v14, v28 dst_sel:DWORD dst_unused:UNUSED_PAD src0_sel:WORD_1 src1_sel:DWORD
	v_fma_f16 v15, v16, v59, -v15
	v_fma_f16 v16, v17, v62, -v20
	v_sub_f16_e32 v17, v0, v86
	v_sub_f16_e32 v20, v84, v88
	v_lshrrev_b32_e32 v37, 16, v8
	v_sub_f16_e32 v18, v30, v18
	v_sub_f16_e32 v5, v33, v5
	v_fma_f16 v13, v13, v67, -v26
	v_fma_f16 v26, v27, 2.0, -v2
	v_sub_f16_e32 v27, v1, v85
	v_sub_f16_e32 v7, v3, v7
	v_lshrrev_b32_e32 v63, 16, v9
	v_fmac_f16_e32 v32, v14, v28
	v_fma_f16 v14, v14, v83, -v35
	v_fma_f16 v0, v0, 2.0, -v17
	v_fma_f16 v29, v84, 2.0, -v20
	;; [unrolled: 1-line block ×4, first 2 shown]
	v_sub_f16_e32 v33, v8, v34
	v_sub_f16_e32 v19, v31, v19
	;; [unrolled: 1-line block ×4, first 2 shown]
	v_fma_f16 v1, v1, 2.0, -v27
	v_fma_f16 v3, v3, 2.0, -v7
	v_sub_f16_e32 v12, v9, v12
	v_sub_f16_e32 v13, v63, v13
	;; [unrolled: 1-line block ×5, first 2 shown]
	v_add_f16_e32 v6, v17, v6
	v_sub_f16_e32 v20, v4, v20
	v_fma_f16 v8, v8, 2.0, -v33
	v_fma_f16 v31, v31, 2.0, -v19
	;; [unrolled: 1-line block ×4, first 2 shown]
	v_sub_f16_e32 v28, v1, v28
	v_sub_f16_e32 v3, v30, v3
	v_add_f16_e32 v7, v27, v7
	v_sub_f16_e32 v18, v5, v18
	v_fma_f16 v9, v9, 2.0, -v12
	v_fma_f16 v35, v63, 2.0, -v13
	;; [unrolled: 1-line block ×7, first 2 shown]
	v_sub_f16_e32 v31, v8, v31
	v_sub_f16_e32 v10, v34, v10
	v_add_f16_e32 v16, v33, v16
	v_sub_f16_e32 v19, v15, v19
	v_fma_f16 v1, v1, 2.0, -v28
	v_fma_f16 v30, v30, 2.0, -v3
	;; [unrolled: 1-line block ×4, first 2 shown]
	v_sub_f16_e32 v25, v9, v25
	v_sub_f16_e32 v11, v35, v11
	v_add_f16_e32 v14, v12, v14
	v_sub_f16_e32 v32, v13, v32
	v_pack_b32_f16 v0, v0, v26
	v_pack_b32_f16 v4, v17, v4
	v_fma_f16 v8, v8, 2.0, -v31
	v_fma_f16 v34, v34, 2.0, -v10
	;; [unrolled: 1-line block ×4, first 2 shown]
	v_pack_b32_f16 v2, v29, v2
	v_pack_b32_f16 v6, v6, v20
	;; [unrolled: 1-line block ×4, first 2 shown]
	v_fma_f16 v9, v9, 2.0, -v25
	v_fma_f16 v35, v35, 2.0, -v11
	;; [unrolled: 1-line block ×4, first 2 shown]
	ds_write2_b32 v60, v0, v4 offset1:68
	ds_write2_b32 v60, v2, v6 offset0:136 offset1:204
	ds_write2_b32 v22, v1, v5 offset0:16 offset1:84
	v_pack_b32_f16 v0, v28, v3
	v_pack_b32_f16 v1, v7, v18
	;; [unrolled: 1-line block ×4, first 2 shown]
	v_add_nc_u32_e32 v4, 0x800, v66
	v_pack_b32_f16 v5, v31, v10
	v_pack_b32_f16 v6, v16, v19
	;; [unrolled: 1-line block ×4, first 2 shown]
	v_add_nc_u32_e32 v9, 0xc00, v65
	v_pack_b32_f16 v10, v25, v11
	v_pack_b32_f16 v11, v14, v32
	ds_write2_b32 v22, v0, v1 offset0:152 offset1:220
	ds_write2_b32 v4, v2, v3 offset0:32 offset1:100
	;; [unrolled: 1-line block ×5, first 2 shown]
	s_waitcnt lgkmcnt(0)
	s_barrier
	buffer_gl0_inv
	ds_read2_b32 v[0:1], v60 offset1:68
	ds_read2_b32 v[2:3], v24 offset0:32 offset1:100
	ds_read2_b32 v[4:5], v60 offset0:136 offset1:204
	;; [unrolled: 1-line block ×7, first 2 shown]
	s_waitcnt lgkmcnt(0)
	s_barrier
	buffer_gl0_inv
	v_lshrrev_b32_e32 v16, 16, v0
	v_lshrrev_b32_e32 v17, 16, v2
	;; [unrolled: 1-line block ×5, first 2 shown]
	v_mul_f16_sdwa v35, v69, v2 dst_sel:DWORD dst_unused:UNUSED_PAD src0_sel:WORD_1 src1_sel:DWORD
	v_mul_f16_sdwa v33, v69, v17 dst_sel:DWORD dst_unused:UNUSED_PAD src0_sel:WORD_1 src1_sel:DWORD
	;; [unrolled: 1-line block ×4, first 2 shown]
	v_lshrrev_b32_e32 v31, 16, v11
	v_lshrrev_b32_e32 v29, 16, v10
	v_fmac_f16_e32 v33, v69, v2
	v_mul_f16_sdwa v2, v71, v19 dst_sel:DWORD dst_unused:UNUSED_PAD src0_sel:WORD_1 src1_sel:DWORD
	v_fma_f16 v17, v69, v17, -v35
	v_mul_f16_sdwa v35, v71, v3 dst_sel:DWORD dst_unused:UNUSED_PAD src0_sel:WORD_1 src1_sel:DWORD
	v_fmac_f16_e32 v58, v68, v6
	v_fma_f16 v6, v68, v25, -v59
	v_fmac_f16_e32 v2, v71, v3
	v_mul_f16_sdwa v3, v70, v27 dst_sel:DWORD dst_unused:UNUSED_PAD src0_sel:WORD_1 src1_sel:DWORD
	v_mul_f16_sdwa v25, v70, v7 dst_sel:DWORD dst_unused:UNUSED_PAD src0_sel:WORD_1 src1_sel:DWORD
	v_lshrrev_b32_e32 v34, 16, v14
	v_mul_f16_sdwa v59, v71, v31 dst_sel:DWORD dst_unused:UNUSED_PAD src0_sel:WORD_1 src1_sel:DWORD
	v_lshrrev_b32_e32 v37, 16, v15
	v_fma_f16 v19, v71, v19, -v35
	v_fmac_f16_e32 v3, v70, v7
	v_mul_f16_sdwa v7, v69, v29 dst_sel:DWORD dst_unused:UNUSED_PAD src0_sel:WORD_1 src1_sel:DWORD
	v_mul_f16_sdwa v35, v69, v10 dst_sel:DWORD dst_unused:UNUSED_PAD src0_sel:WORD_1 src1_sel:DWORD
	v_fma_f16 v25, v70, v27, -v25
	v_mul_f16_sdwa v27, v71, v11 dst_sel:DWORD dst_unused:UNUSED_PAD src0_sel:WORD_1 src1_sel:DWORD
	v_lshrrev_b32_e32 v18, 16, v1
	v_fmac_f16_e32 v59, v71, v11
	v_mul_f16_sdwa v11, v68, v34 dst_sel:DWORD dst_unused:UNUSED_PAD src0_sel:WORD_1 src1_sel:DWORD
	v_lshrrev_b32_e32 v20, 16, v4
	v_lshrrev_b32_e32 v26, 16, v5
	v_fmac_f16_e32 v7, v69, v10
	v_fma_f16 v10, v69, v29, -v35
	v_fma_f16 v27, v71, v31, -v27
	v_mul_f16_sdwa v29, v68, v14 dst_sel:DWORD dst_unused:UNUSED_PAD src0_sel:WORD_1 src1_sel:DWORD
	v_mul_f16_sdwa v31, v70, v37 dst_sel:DWORD dst_unused:UNUSED_PAD src0_sel:WORD_1 src1_sel:DWORD
	;; [unrolled: 1-line block ×3, first 2 shown]
	v_fmac_f16_e32 v11, v68, v14
	v_sub_f16_e32 v14, v0, v33
	v_sub_f16_e32 v17, v16, v17
	;; [unrolled: 1-line block ×4, first 2 shown]
	v_lshrrev_b32_e32 v28, 16, v8
	v_lshrrev_b32_e32 v30, 16, v9
	v_sub_f16_e32 v33, v4, v58
	v_sub_f16_e32 v6, v20, v6
	;; [unrolled: 1-line block ×4, first 2 shown]
	v_lshrrev_b32_e32 v32, 16, v12
	v_lshrrev_b32_e32 v36, 16, v13
	v_fma_f16 v29, v68, v34, -v29
	v_fmac_f16_e32 v31, v70, v15
	v_fma_f16 v15, v70, v37, -v35
	v_fma_f16 v0, v0, 2.0, -v14
	v_fma_f16 v16, v16, 2.0, -v17
	;; [unrolled: 1-line block ×6, first 2 shown]
	v_sub_f16_e32 v7, v8, v7
	v_sub_f16_e32 v10, v28, v10
	v_fma_f16 v5, v5, 2.0, -v3
	v_sub_f16_e32 v34, v9, v59
	v_fma_f16 v26, v26, 2.0, -v25
	v_sub_f16_e32 v27, v30, v27
	v_sub_f16_e32 v11, v12, v11
	v_sub_f16_e32 v29, v32, v29
	v_sub_f16_e32 v31, v13, v31
	v_sub_f16_e32 v15, v36, v15
	v_pack_b32_f16 v0, v0, v16
	v_pack_b32_f16 v1, v1, v18
	v_fma_f16 v8, v8, 2.0, -v7
	v_fma_f16 v28, v28, 2.0, -v10
	;; [unrolled: 1-line block ×4, first 2 shown]
	v_pack_b32_f16 v14, v14, v17
	v_pack_b32_f16 v2, v2, v19
	;; [unrolled: 1-line block ×4, first 2 shown]
	v_fma_f16 v12, v12, 2.0, -v11
	v_fma_f16 v32, v32, 2.0, -v29
	;; [unrolled: 1-line block ×4, first 2 shown]
	ds_write2_b32 v60, v0, v1 offset1:68
	ds_write2_b32 v22, v14, v2 offset0:16 offset1:84
	v_pack_b32_f16 v0, v33, v6
	v_pack_b32_f16 v1, v3, v25
	ds_write2_b32 v60, v4, v5 offset0:136 offset1:204
	v_pack_b32_f16 v2, v8, v28
	v_pack_b32_f16 v4, v9, v30
	;; [unrolled: 1-line block ×8, first 2 shown]
	ds_write2_b32 v22, v0, v1 offset0:152 offset1:220
	ds_write2_b32 v24, v2, v4 offset0:32 offset1:100
	;; [unrolled: 1-line block ×5, first 2 shown]
	s_waitcnt lgkmcnt(0)
	s_barrier
	buffer_gl0_inv
	ds_read2_b32 v[0:1], v60 offset1:68
	ds_read2_b32 v[2:3], v24 offset0:32 offset1:100
	ds_read2_b32 v[4:5], v60 offset0:136 offset1:204
	;; [unrolled: 1-line block ×7, first 2 shown]
	s_waitcnt lgkmcnt(7)
	v_lshrrev_b32_e32 v16, 16, v0
	s_waitcnt lgkmcnt(6)
	v_lshrrev_b32_e32 v17, 16, v2
	v_lshrrev_b32_e32 v19, 16, v3
	s_waitcnt lgkmcnt(4)
	v_lshrrev_b32_e32 v22, 16, v6
	v_lshrrev_b32_e32 v24, 16, v7
	v_mul_f16_sdwa v33, v78, v2 dst_sel:DWORD dst_unused:UNUSED_PAD src0_sel:WORD_1 src1_sel:DWORD
	v_mul_f16_sdwa v32, v78, v17 dst_sel:DWORD dst_unused:UNUSED_PAD src0_sel:WORD_1 src1_sel:DWORD
	;; [unrolled: 1-line block ×4, first 2 shown]
	s_waitcnt lgkmcnt(2)
	v_lshrrev_b32_e32 v26, 16, v10
	s_waitcnt lgkmcnt(0)
	v_lshrrev_b32_e32 v30, 16, v14
	v_fmac_f16_e32 v32, v78, v2
	v_fma_f16 v2, v78, v17, -v33
	v_fmac_f16_e32 v34, v80, v3
	v_mul_f16_sdwa v3, v76, v22 dst_sel:DWORD dst_unused:UNUSED_PAD src0_sel:WORD_1 src1_sel:DWORD
	v_fma_f16 v17, v80, v19, -v36
	v_mul_f16_sdwa v19, v76, v6 dst_sel:DWORD dst_unused:UNUSED_PAD src0_sel:WORD_1 src1_sel:DWORD
	v_mul_f16_sdwa v33, v79, v24 dst_sel:DWORD dst_unused:UNUSED_PAD src0_sel:WORD_1 src1_sel:DWORD
	;; [unrolled: 1-line block ×3, first 2 shown]
	v_lshrrev_b32_e32 v28, 16, v11
	v_lshrrev_b32_e32 v35, 16, v15
	v_fmac_f16_e32 v3, v76, v6
	v_mul_f16_sdwa v6, v74, v26 dst_sel:DWORD dst_unused:UNUSED_PAD src0_sel:WORD_1 src1_sel:DWORD
	v_fma_f16 v19, v76, v22, -v19
	v_fmac_f16_e32 v33, v79, v7
	v_fma_f16 v7, v79, v24, -v36
	v_mul_f16_sdwa v22, v74, v10 dst_sel:DWORD dst_unused:UNUSED_PAD src0_sel:WORD_1 src1_sel:DWORD
	v_mul_f16_sdwa v36, v77, v30 dst_sel:DWORD dst_unused:UNUSED_PAD src0_sel:WORD_1 src1_sel:DWORD
	v_lshrrev_b32_e32 v18, 16, v1
	v_fmac_f16_e32 v6, v74, v10
	v_mul_f16_sdwa v10, v75, v28 dst_sel:DWORD dst_unused:UNUSED_PAD src0_sel:WORD_1 src1_sel:DWORD
	v_mul_f16_sdwa v24, v75, v11 dst_sel:DWORD dst_unused:UNUSED_PAD src0_sel:WORD_1 src1_sel:DWORD
	v_fma_f16 v22, v74, v26, -v22
	v_mul_f16_sdwa v26, v77, v14 dst_sel:DWORD dst_unused:UNUSED_PAD src0_sel:WORD_1 src1_sel:DWORD
	v_fmac_f16_e32 v36, v77, v14
	v_mul_f16_sdwa v14, v73, v35 dst_sel:DWORD dst_unused:UNUSED_PAD src0_sel:WORD_1 src1_sel:DWORD
	v_fmac_f16_e32 v10, v75, v11
	v_fma_f16 v11, v75, v28, -v24
	v_fma_f16 v24, v77, v30, -v26
	v_mul_f16_sdwa v26, v73, v15 dst_sel:DWORD dst_unused:UNUSED_PAD src0_sel:WORD_1 src1_sel:DWORD
	v_sub_f16_e32 v28, v0, v32
	v_sub_f16_e32 v2, v16, v2
	v_fmac_f16_e32 v14, v73, v15
	v_sub_f16_e32 v15, v1, v34
	v_sub_f16_e32 v17, v18, v17
	v_lshrrev_b32_e32 v20, 16, v4
	v_lshrrev_b32_e32 v23, 16, v5
	;; [unrolled: 1-line block ×4, first 2 shown]
	v_fma_f16 v0, v0, 2.0, -v28
	v_fma_f16 v16, v16, 2.0, -v2
	;; [unrolled: 1-line block ×4, first 2 shown]
	v_lshrrev_b32_e32 v29, 16, v12
	v_sub_f16_e32 v3, v4, v3
	v_sub_f16_e32 v19, v20, v19
	;; [unrolled: 1-line block ×4, first 2 shown]
	v_lshrrev_b32_e32 v31, 16, v13
	v_fma_f16 v26, v73, v35, -v26
	v_sub_f16_e32 v6, v8, v6
	v_sub_f16_e32 v22, v25, v22
	;; [unrolled: 1-line block ×4, first 2 shown]
	v_pack_b32_f16 v0, v0, v16
	v_pack_b32_f16 v1, v1, v18
	v_fma_f16 v4, v4, 2.0, -v3
	v_fma_f16 v20, v20, 2.0, -v19
	;; [unrolled: 1-line block ×4, first 2 shown]
	v_sub_f16_e32 v32, v12, v36
	v_sub_f16_e32 v24, v29, v24
	v_sub_f16_e32 v14, v13, v14
	v_sub_f16_e32 v26, v31, v26
	v_fma_f16 v8, v8, 2.0, -v6
	v_fma_f16 v25, v25, 2.0, -v22
	v_fma_f16 v9, v9, 2.0, -v10
	v_fma_f16 v27, v27, 2.0, -v11
	v_pack_b32_f16 v2, v28, v2
	ds_write2_b32 v72, v0, v1 offset1:68
	v_pack_b32_f16 v0, v15, v17
	v_add_nc_u32_e32 v1, 0x800, v72
	v_fma_f16 v12, v12, 2.0, -v32
	v_fma_f16 v16, v29, 2.0, -v24
	v_pack_b32_f16 v4, v4, v20
	v_pack_b32_f16 v5, v5, v23
	;; [unrolled: 1-line block ×4, first 2 shown]
	v_fma_f16 v13, v13, 2.0, -v14
	v_fma_f16 v18, v31, 2.0, -v26
	v_pack_b32_f16 v8, v8, v25
	v_pack_b32_f16 v9, v9, v27
	v_add_nc_u32_e32 v15, 0x400, v72
	ds_write2_b32 v1, v2, v0 offset0:32 offset1:100
	ds_write2_b32 v72, v4, v5 offset0:136 offset1:204
	;; [unrolled: 1-line block ×3, first 2 shown]
	v_pack_b32_f16 v0, v6, v22
	v_pack_b32_f16 v1, v10, v11
	v_add_nc_u32_e32 v2, 0xc00, v72
	v_pack_b32_f16 v3, v12, v16
	v_pack_b32_f16 v4, v32, v24
	;; [unrolled: 1-line block ×4, first 2 shown]
	ds_write2_b32 v15, v8, v9 offset0:16 offset1:84
	ds_write2_b32 v2, v0, v1 offset0:48 offset1:116
	ds_write_b32 v72, v3 offset:1632
	ds_write_b32 v82, v4 offset:2176
	;; [unrolled: 1-line block ×4, first 2 shown]
	s_waitcnt lgkmcnt(0)
	s_barrier
	buffer_gl0_inv
	s_and_b32 exec_lo, exec_lo, vcc_lo
	s_cbranch_execz .LBB0_15
; %bb.14:
	global_load_dword v0, v48, s[12:13]
	ds_read_b32 v1, v57
	s_mov_b32 s8, 0x1e1e1e1e
	s_mov_b32 s9, 0x3f4e1e1e
	v_mad_u64_u32 v[6:7], null, s4, v56, 0
	s_waitcnt lgkmcnt(0)
	v_lshrrev_b32_e32 v2, 16, v1
	s_waitcnt vmcnt(0)
	v_mul_f16_sdwa v3, v2, v0 dst_sel:DWORD dst_unused:UNUSED_PAD src0_sel:DWORD src1_sel:WORD_1
	v_mul_f16_sdwa v4, v1, v0 dst_sel:DWORD dst_unused:UNUSED_PAD src0_sel:DWORD src1_sel:WORD_1
	v_fmac_f16_e32 v3, v1, v0
	v_fma_f16 v0, v0, v2, -v4
	v_mad_u64_u32 v[4:5], null, s6, v21, 0
	v_cvt_f32_f16_e32 v1, v3
	v_cvt_f32_f16_e32 v2, v0
	v_cvt_f64_f32_e32 v[0:1], v1
	v_cvt_f64_f32_e32 v[2:3], v2
	v_mul_f64 v[0:1], v[0:1], s[8:9]
	v_mul_f64 v[2:3], v[2:3], s[8:9]
	v_and_or_b32 v0, 0x1ff, v1, v0
	v_and_or_b32 v2, 0x1ff, v3, v2
	v_lshrrev_b32_e32 v8, 8, v1
	v_bfe_u32 v10, v1, 20, 11
	v_lshrrev_b32_e32 v9, 8, v3
	v_cmp_ne_u32_e32 vcc_lo, 0, v0
	v_bfe_u32 v11, v3, 20, 11
	v_mov_b32_e32 v0, v7
	v_sub_nc_u32_e32 v13, 0x3f1, v10
	v_add_nc_u32_e32 v10, 0xfffffc10, v10
	v_cndmask_b32_e64 v12, 0, 1, vcc_lo
	v_cmp_ne_u32_e32 vcc_lo, 0, v2
	v_sub_nc_u32_e32 v14, 0x3f1, v11
	v_med3_i32 v13, v13, 0, 13
	v_add_nc_u32_e32 v11, 0xfffffc10, v11
	v_and_or_b32 v12, 0xffe, v8, v12
	v_cndmask_b32_e64 v2, 0, 1, vcc_lo
	v_mad_u64_u32 v[7:8], null, s7, v21, v[5:6]
	v_med3_i32 v14, v14, 0, 13
	v_or_b32_e32 v15, 0x1000, v12
	v_and_or_b32 v2, 0xffe, v9, v2
	v_mad_u64_u32 v[8:9], null, s5, v56, v[0:1]
	v_lshrrev_b32_e32 v3, 16, v3
	v_lshrrev_b32_e32 v0, v13, v15
	v_or_b32_e32 v16, 0x1000, v2
	v_mov_b32_e32 v5, v7
	v_mov_b32_e32 v7, v8
	v_lshrrev_b32_e32 v9, v14, v16
	v_lshlrev_b32_e32 v13, v13, v0
	v_lshlrev_b64 v[4:5], 2, v[4:5]
	v_lshlrev_b32_e32 v8, v14, v9
	v_cmp_ne_u32_e32 vcc_lo, v13, v15
	v_lshl_or_b32 v14, v10, 12, v12
	v_cndmask_b32_e64 v13, 0, 1, vcc_lo
	v_cmp_ne_u32_e32 vcc_lo, v8, v16
	v_or_b32_e32 v0, v0, v13
	v_cndmask_b32_e64 v8, 0, 1, vcc_lo
	v_cmp_gt_i32_e32 vcc_lo, 1, v10
	v_lshl_or_b32 v13, v11, 12, v2
	v_or_b32_e32 v8, v9, v8
	v_cndmask_b32_e32 v0, v14, v0, vcc_lo
	v_cmp_gt_i32_e32 vcc_lo, 1, v11
	v_lshrrev_b32_e32 v9, 16, v1
	v_cndmask_b32_e32 v1, v13, v8, vcc_lo
	v_cmp_ne_u32_e32 vcc_lo, 0, v12
	v_and_b32_e32 v12, 7, v0
	v_lshrrev_b32_e32 v0, 2, v0
	v_and_b32_e32 v13, 7, v1
	v_cndmask_b32_e64 v8, 0, 1, vcc_lo
	v_cmp_ne_u32_e32 vcc_lo, 0, v2
	v_cmp_eq_u32_e64 s0, 3, v12
	v_lshrrev_b32_e32 v1, 2, v1
	v_cmp_lt_i32_e64 s1, 5, v13
	v_cmp_eq_u32_e64 s2, 3, v13
	v_cndmask_b32_e64 v2, 0, 1, vcc_lo
	v_cmp_lt_i32_e32 vcc_lo, 5, v12
	v_lshl_or_b32 v8, v8, 9, 0x7c00
	v_lshl_or_b32 v2, v2, 9, 0x7c00
	s_or_b32 vcc_lo, s0, vcc_lo
	v_add_co_ci_u32_e32 v0, vcc_lo, 0, v0, vcc_lo
	s_or_b32 vcc_lo, s2, s1
	v_add_co_ci_u32_e32 v1, vcc_lo, 0, v1, vcc_lo
	v_cmp_gt_i32_e32 vcc_lo, 31, v10
	v_cndmask_b32_e32 v0, 0x7c00, v0, vcc_lo
	v_cmp_gt_i32_e32 vcc_lo, 31, v11
	v_cndmask_b32_e32 v12, 0x7c00, v1, vcc_lo
	v_cmp_eq_u32_e32 vcc_lo, 0x40f, v10
	v_lshl_add_u32 v10, v55, 2, v61
	v_cndmask_b32_e32 v8, v0, v8, vcc_lo
	v_cmp_eq_u32_e32 vcc_lo, 0x40f, v11
	v_lshlrev_b64 v[0:1], 2, v[6:7]
	v_and_or_b32 v6, 0x8000, v9, v8
	v_cndmask_b32_e32 v2, v12, v2, vcc_lo
	v_add_co_u32 v8, vcc_lo, s14, v4
	v_add_co_ci_u32_e32 v9, vcc_lo, s15, v5, vcc_lo
	v_and_or_b32 v2, 0x8000, v3, v2
	v_and_b32_e32 v3, 0xffff, v6
	v_add_co_u32 v0, vcc_lo, v8, v0
	v_add_co_ci_u32_e32 v1, vcc_lo, v9, v1, vcc_lo
	v_lshl_or_b32 v2, v2, 16, v3
	global_store_dword v[0:1], v2, off
	global_load_dword v11, v48, s[12:13] offset:256
	ds_read2st64_b32 v[2:3], v10 offset0:1 offset1:2
	ds_read2st64_b32 v[4:5], v10 offset0:3 offset1:4
	;; [unrolled: 1-line block ×4, first 2 shown]
	s_waitcnt lgkmcnt(3)
	v_lshrrev_b32_e32 v12, 16, v2
	s_waitcnt vmcnt(0)
	v_mul_f16_sdwa v13, v12, v11 dst_sel:DWORD dst_unused:UNUSED_PAD src0_sel:DWORD src1_sel:WORD_1
	v_mul_f16_sdwa v14, v2, v11 dst_sel:DWORD dst_unused:UNUSED_PAD src0_sel:DWORD src1_sel:WORD_1
	v_fmac_f16_e32 v13, v2, v11
	v_fma_f16 v2, v11, v12, -v14
	v_cvt_f32_f16_e32 v11, v13
	v_cvt_f32_f16_e32 v2, v2
	v_cvt_f64_f32_e32 v[11:12], v11
	v_cvt_f64_f32_e32 v[13:14], v2
	v_mul_f64 v[11:12], v[11:12], s[8:9]
	v_mul_f64 v[13:14], v[13:14], s[8:9]
	v_and_or_b32 v2, 0x1ff, v12, v11
	v_and_or_b32 v13, 0x1ff, v14, v13
	v_lshrrev_b32_e32 v11, 8, v12
	v_bfe_u32 v17, v12, 20, 11
	v_lshrrev_b32_e32 v15, 8, v14
	v_cmp_ne_u32_e32 vcc_lo, 0, v2
	v_bfe_u32 v18, v14, 20, 11
	v_lshrrev_b32_e32 v12, 16, v12
	v_sub_nc_u32_e32 v16, 0x3f1, v17
	v_lshrrev_b32_e32 v14, 16, v14
	v_cndmask_b32_e64 v2, 0, 1, vcc_lo
	v_cmp_ne_u32_e32 vcc_lo, 0, v13
	v_sub_nc_u32_e32 v19, 0x3f1, v18
	v_add_nc_u32_e32 v18, 0xfffffc10, v18
	v_and_or_b32 v11, 0xffe, v11, v2
	v_cndmask_b32_e64 v13, 0, 1, vcc_lo
	v_med3_i32 v2, v16, 0, 13
	v_med3_i32 v19, v19, 0, 13
	v_or_b32_e32 v20, 0x1000, v11
	v_and_or_b32 v13, 0xffe, v15, v13
	v_mad_u64_u32 v[15:16], null, s4, v54, 0
	v_lshrrev_b32_e32 v22, v2, v20
	v_or_b32_e32 v21, 0x1000, v13
	v_lshlrev_b32_e32 v24, v2, v22
	v_lshrrev_b32_e32 v23, v19, v21
	v_mov_b32_e32 v2, v16
	v_cmp_ne_u32_e32 vcc_lo, v24, v20
	v_lshlrev_b32_e32 v16, v19, v23
	v_add_nc_u32_e32 v19, 0xfffffc10, v17
	v_cndmask_b32_e64 v20, 0, 1, vcc_lo
	v_cmp_ne_u32_e32 vcc_lo, v16, v21
	v_mad_u64_u32 v[16:17], null, s5, v54, v[2:3]
	v_lshl_or_b32 v2, v19, 12, v11
	v_or_b32_e32 v17, v22, v20
	v_cndmask_b32_e64 v21, 0, 1, vcc_lo
	v_cmp_gt_i32_e32 vcc_lo, 1, v19
	v_lshl_or_b32 v20, v18, 12, v13
	v_or_b32_e32 v21, v23, v21
	v_cndmask_b32_e32 v2, v2, v17, vcc_lo
	v_cmp_gt_i32_e32 vcc_lo, 1, v18
	v_cndmask_b32_e32 v17, v20, v21, vcc_lo
	v_cmp_ne_u32_e32 vcc_lo, 0, v11
	v_and_b32_e32 v20, 7, v2
	v_lshrrev_b32_e32 v2, 2, v2
	v_and_b32_e32 v21, 7, v17
	v_cndmask_b32_e64 v11, 0, 1, vcc_lo
	v_cmp_ne_u32_e32 vcc_lo, 0, v13
	v_cmp_eq_u32_e64 s0, 3, v20
	v_lshrrev_b32_e32 v17, 2, v17
	v_cmp_lt_i32_e64 s1, 5, v21
	v_cmp_eq_u32_e64 s2, 3, v21
	v_cndmask_b32_e64 v13, 0, 1, vcc_lo
	v_cmp_lt_i32_e32 vcc_lo, 5, v20
	v_lshl_or_b32 v11, v11, 9, 0x7c00
	v_lshl_or_b32 v13, v13, 9, 0x7c00
	s_or_b32 vcc_lo, s0, vcc_lo
	v_add_co_ci_u32_e32 v2, vcc_lo, 0, v2, vcc_lo
	s_or_b32 vcc_lo, s2, s1
	v_add_co_ci_u32_e32 v17, vcc_lo, 0, v17, vcc_lo
	v_cmp_gt_i32_e32 vcc_lo, 31, v19
	v_cndmask_b32_e32 v2, 0x7c00, v2, vcc_lo
	v_cmp_gt_i32_e32 vcc_lo, 31, v18
	v_cndmask_b32_e32 v17, 0x7c00, v17, vcc_lo
	v_cmp_eq_u32_e32 vcc_lo, 0x40f, v19
	v_cndmask_b32_e32 v2, v2, v11, vcc_lo
	v_cmp_eq_u32_e32 vcc_lo, 0x40f, v18
	v_and_or_b32 v2, 0x8000, v12, v2
	v_cndmask_b32_e32 v13, v17, v13, vcc_lo
	v_lshlrev_b64 v[11:12], 2, v[15:16]
	v_and_b32_e32 v2, 0xffff, v2
	v_and_or_b32 v13, 0x8000, v14, v13
	v_add_co_u32 v11, vcc_lo, v8, v11
	v_add_co_ci_u32_e32 v12, vcc_lo, v9, v12, vcc_lo
	v_lshl_or_b32 v2, v13, 16, v2
	global_store_dword v[11:12], v2, off
	global_load_dword v2, v48, s[12:13] offset:512
	v_lshrrev_b32_e32 v11, 16, v3
	s_waitcnt vmcnt(0)
	v_mul_f16_sdwa v12, v11, v2 dst_sel:DWORD dst_unused:UNUSED_PAD src0_sel:DWORD src1_sel:WORD_1
	v_mul_f16_sdwa v13, v3, v2 dst_sel:DWORD dst_unused:UNUSED_PAD src0_sel:DWORD src1_sel:WORD_1
	v_fmac_f16_e32 v12, v3, v2
	v_fma_f16 v2, v2, v11, -v13
	v_cvt_f32_f16_e32 v3, v12
	v_cvt_f32_f16_e32 v11, v2
	v_cvt_f64_f32_e32 v[2:3], v3
	v_cvt_f64_f32_e32 v[11:12], v11
	v_mul_f64 v[2:3], v[2:3], s[8:9]
	v_mul_f64 v[11:12], v[11:12], s[8:9]
	v_and_or_b32 v2, 0x1ff, v3, v2
	v_and_or_b32 v11, 0x1ff, v12, v11
	v_lshrrev_b32_e32 v13, 8, v3
	v_bfe_u32 v15, v3, 20, 11
	v_bfe_u32 v16, v12, 20, 11
	v_cmp_ne_u32_e32 vcc_lo, 0, v2
	v_lshrrev_b32_e32 v14, 8, v12
	v_lshrrev_b32_e32 v12, 16, v12
	v_sub_nc_u32_e32 v17, 0x3f1, v15
	v_sub_nc_u32_e32 v18, 0x3f1, v16
	v_cndmask_b32_e64 v2, 0, 1, vcc_lo
	v_cmp_ne_u32_e32 vcc_lo, 0, v11
	v_add_nc_u32_e32 v16, 0xfffffc10, v16
	v_and_or_b32 v19, 0xffe, v13, v2
	v_cndmask_b32_e64 v11, 0, 1, vcc_lo
	v_med3_i32 v2, v17, 0, 13
	v_med3_i32 v17, v18, 0, 13
	v_or_b32_e32 v18, 0x1000, v19
	v_and_or_b32 v11, 0xffe, v14, v11
	v_mad_u64_u32 v[13:14], null, s4, v53, 0
	v_lshrrev_b32_e32 v21, v2, v18
	v_or_b32_e32 v20, 0x1000, v11
	v_lshlrev_b32_e32 v23, v2, v21
	v_lshrrev_b32_e32 v22, v17, v20
	v_mov_b32_e32 v2, v14
	v_cmp_ne_u32_e32 vcc_lo, v23, v18
	v_lshlrev_b32_e32 v14, v17, v22
	v_add_nc_u32_e32 v17, 0xfffffc10, v15
	v_cndmask_b32_e64 v18, 0, 1, vcc_lo
	v_cmp_ne_u32_e32 vcc_lo, v14, v20
	v_mad_u64_u32 v[14:15], null, s5, v53, v[2:3]
	v_lshl_or_b32 v2, v17, 12, v19
	v_or_b32_e32 v15, v21, v18
	v_cndmask_b32_e64 v20, 0, 1, vcc_lo
	v_cmp_gt_i32_e32 vcc_lo, 1, v17
	v_lshl_or_b32 v18, v16, 12, v11
	v_lshrrev_b32_e32 v3, 16, v3
	v_or_b32_e32 v20, v22, v20
	v_cndmask_b32_e32 v2, v2, v15, vcc_lo
	v_cmp_gt_i32_e32 vcc_lo, 1, v16
	v_cndmask_b32_e32 v15, v18, v20, vcc_lo
	v_cmp_ne_u32_e32 vcc_lo, 0, v19
	v_and_b32_e32 v19, 7, v2
	v_lshrrev_b32_e32 v2, 2, v2
	v_and_b32_e32 v20, 7, v15
	v_cndmask_b32_e64 v18, 0, 1, vcc_lo
	v_cmp_ne_u32_e32 vcc_lo, 0, v11
	v_cmp_eq_u32_e64 s0, 3, v19
	v_lshrrev_b32_e32 v15, 2, v15
	v_cmp_lt_i32_e64 s1, 5, v20
	v_cmp_eq_u32_e64 s2, 3, v20
	v_cndmask_b32_e64 v11, 0, 1, vcc_lo
	v_cmp_lt_i32_e32 vcc_lo, 5, v19
	v_lshl_or_b32 v18, v18, 9, 0x7c00
	v_lshl_or_b32 v11, v11, 9, 0x7c00
	s_or_b32 vcc_lo, s0, vcc_lo
	v_add_co_ci_u32_e32 v2, vcc_lo, 0, v2, vcc_lo
	s_or_b32 vcc_lo, s2, s1
	v_add_co_ci_u32_e32 v15, vcc_lo, 0, v15, vcc_lo
	v_cmp_gt_i32_e32 vcc_lo, 31, v17
	v_cndmask_b32_e32 v2, 0x7c00, v2, vcc_lo
	v_cmp_gt_i32_e32 vcc_lo, 31, v16
	v_cndmask_b32_e32 v15, 0x7c00, v15, vcc_lo
	v_cmp_eq_u32_e32 vcc_lo, 0x40f, v17
	v_cndmask_b32_e32 v2, v2, v18, vcc_lo
	v_cmp_eq_u32_e32 vcc_lo, 0x40f, v16
	v_cndmask_b32_e32 v11, v15, v11, vcc_lo
	v_and_or_b32 v15, 0x8000, v3, v2
	v_lshlrev_b64 v[2:3], 2, v[13:14]
	v_and_or_b32 v11, 0x8000, v12, v11
	v_and_b32_e32 v12, 0xffff, v15
	v_add_co_u32 v2, vcc_lo, v8, v2
	v_add_co_ci_u32_e32 v3, vcc_lo, v9, v3, vcc_lo
	v_lshl_or_b32 v11, v11, 16, v12
	global_store_dword v[2:3], v11, off
	global_load_dword v2, v48, s[12:13] offset:768
	s_waitcnt lgkmcnt(2)
	v_lshrrev_b32_e32 v3, 16, v4
	s_waitcnt vmcnt(0)
	v_mul_f16_sdwa v11, v3, v2 dst_sel:DWORD dst_unused:UNUSED_PAD src0_sel:DWORD src1_sel:WORD_1
	v_mul_f16_sdwa v12, v4, v2 dst_sel:DWORD dst_unused:UNUSED_PAD src0_sel:DWORD src1_sel:WORD_1
	v_fmac_f16_e32 v11, v4, v2
	v_fma_f16 v2, v2, v3, -v12
	v_cvt_f32_f16_e32 v3, v11
	v_cvt_f32_f16_e32 v4, v2
	v_cvt_f64_f32_e32 v[2:3], v3
	v_cvt_f64_f32_e32 v[11:12], v4
	v_mul_f64 v[2:3], v[2:3], s[8:9]
	v_mul_f64 v[11:12], v[11:12], s[8:9]
	v_and_or_b32 v2, 0x1ff, v3, v2
	v_and_or_b32 v11, 0x1ff, v12, v11
	v_lshrrev_b32_e32 v4, 8, v3
	v_bfe_u32 v15, v3, 20, 11
	v_lshrrev_b32_e32 v13, 8, v12
	v_cmp_ne_u32_e32 vcc_lo, 0, v2
	v_bfe_u32 v16, v12, 20, 11
	v_sub_nc_u32_e32 v14, 0x3f1, v15
	v_cndmask_b32_e64 v2, 0, 1, vcc_lo
	v_cmp_ne_u32_e32 vcc_lo, 0, v11
	v_sub_nc_u32_e32 v17, 0x3f1, v16
	v_add_nc_u32_e32 v16, 0xfffffc10, v16
	v_and_or_b32 v4, 0xffe, v4, v2
	v_cndmask_b32_e64 v11, 0, 1, vcc_lo
	v_med3_i32 v2, v14, 0, 13
	v_med3_i32 v17, v17, 0, 13
	v_or_b32_e32 v18, 0x1000, v4
	v_and_or_b32 v11, 0xffe, v13, v11
	v_mad_u64_u32 v[13:14], null, s4, v52, 0
	v_lshrrev_b32_e32 v20, v2, v18
	v_or_b32_e32 v19, 0x1000, v11
	v_lshlrev_b32_e32 v22, v2, v20
	v_lshrrev_b32_e32 v21, v17, v19
	v_mov_b32_e32 v2, v14
	v_cmp_ne_u32_e32 vcc_lo, v22, v18
	v_lshlrev_b32_e32 v14, v17, v21
	v_add_nc_u32_e32 v17, 0xfffffc10, v15
	v_cndmask_b32_e64 v18, 0, 1, vcc_lo
	v_cmp_ne_u32_e32 vcc_lo, v14, v19
	v_mad_u64_u32 v[14:15], null, s5, v52, v[2:3]
	v_lshl_or_b32 v2, v17, 12, v4
	v_or_b32_e32 v15, v20, v18
	v_cndmask_b32_e64 v19, 0, 1, vcc_lo
	v_cmp_gt_i32_e32 vcc_lo, 1, v17
	v_lshl_or_b32 v18, v16, 12, v11
	v_lshrrev_b32_e32 v3, 16, v3
	v_or_b32_e32 v19, v21, v19
	v_cndmask_b32_e32 v2, v2, v15, vcc_lo
	v_cmp_gt_i32_e32 vcc_lo, 1, v16
	v_cndmask_b32_e32 v15, v18, v19, vcc_lo
	v_cmp_ne_u32_e32 vcc_lo, 0, v4
	v_and_b32_e32 v18, 7, v2
	v_lshrrev_b32_e32 v2, 2, v2
	v_and_b32_e32 v19, 7, v15
	v_cndmask_b32_e64 v4, 0, 1, vcc_lo
	v_cmp_ne_u32_e32 vcc_lo, 0, v11
	v_cmp_eq_u32_e64 s0, 3, v18
	v_lshrrev_b32_e32 v15, 2, v15
	v_cmp_lt_i32_e64 s1, 5, v19
	v_cmp_eq_u32_e64 s2, 3, v19
	v_cndmask_b32_e64 v11, 0, 1, vcc_lo
	v_cmp_lt_i32_e32 vcc_lo, 5, v18
	v_lshl_or_b32 v4, v4, 9, 0x7c00
	v_lshl_or_b32 v11, v11, 9, 0x7c00
	s_or_b32 vcc_lo, s0, vcc_lo
	v_add_co_ci_u32_e32 v2, vcc_lo, 0, v2, vcc_lo
	s_or_b32 vcc_lo, s2, s1
	v_add_co_ci_u32_e32 v15, vcc_lo, 0, v15, vcc_lo
	v_cmp_gt_i32_e32 vcc_lo, 31, v17
	v_cndmask_b32_e32 v2, 0x7c00, v2, vcc_lo
	v_cmp_gt_i32_e32 vcc_lo, 31, v16
	v_cndmask_b32_e32 v15, 0x7c00, v15, vcc_lo
	v_cmp_eq_u32_e32 vcc_lo, 0x40f, v17
	v_cndmask_b32_e32 v2, v2, v4, vcc_lo
	v_cmp_eq_u32_e32 vcc_lo, 0x40f, v16
	v_lshrrev_b32_e32 v4, 16, v12
	v_and_or_b32 v12, 0x8000, v3, v2
	v_cndmask_b32_e32 v11, v15, v11, vcc_lo
	v_lshlrev_b64 v[2:3], 2, v[13:14]
	v_and_or_b32 v4, 0x8000, v4, v11
	v_and_b32_e32 v11, 0xffff, v12
	v_add_co_u32 v2, vcc_lo, v8, v2
	v_add_co_ci_u32_e32 v3, vcc_lo, v9, v3, vcc_lo
	v_lshl_or_b32 v4, v4, 16, v11
	global_store_dword v[2:3], v4, off
	global_load_dword v2, v48, s[12:13] offset:1024
	v_lshrrev_b32_e32 v3, 16, v5
	s_waitcnt vmcnt(0)
	v_mul_f16_sdwa v4, v3, v2 dst_sel:DWORD dst_unused:UNUSED_PAD src0_sel:DWORD src1_sel:WORD_1
	v_mul_f16_sdwa v11, v5, v2 dst_sel:DWORD dst_unused:UNUSED_PAD src0_sel:DWORD src1_sel:WORD_1
	v_fmac_f16_e32 v4, v5, v2
	v_fma_f16 v2, v2, v3, -v11
	v_cvt_f32_f16_e32 v3, v4
	v_cvt_f32_f16_e32 v4, v2
	v_cvt_f64_f32_e32 v[2:3], v3
	v_cvt_f64_f32_e32 v[4:5], v4
	v_mul_f64 v[2:3], v[2:3], s[8:9]
	v_mul_f64 v[4:5], v[4:5], s[8:9]
	v_and_or_b32 v2, 0x1ff, v3, v2
	v_and_or_b32 v4, 0x1ff, v5, v4
	v_lshrrev_b32_e32 v11, 8, v3
	v_bfe_u32 v13, v3, 20, 11
	v_bfe_u32 v14, v5, 20, 11
	v_cmp_ne_u32_e32 vcc_lo, 0, v2
	v_lshrrev_b32_e32 v12, 8, v5
	v_lshrrev_b32_e32 v5, 16, v5
	v_sub_nc_u32_e32 v15, 0x3f1, v13
	v_sub_nc_u32_e32 v16, 0x3f1, v14
	v_cndmask_b32_e64 v2, 0, 1, vcc_lo
	v_cmp_ne_u32_e32 vcc_lo, 0, v4
	v_add_nc_u32_e32 v14, 0xfffffc10, v14
	v_and_or_b32 v17, 0xffe, v11, v2
	v_cndmask_b32_e64 v4, 0, 1, vcc_lo
	v_med3_i32 v2, v15, 0, 13
	v_med3_i32 v15, v16, 0, 13
	v_or_b32_e32 v16, 0x1000, v17
	v_and_or_b32 v4, 0xffe, v12, v4
	v_mad_u64_u32 v[11:12], null, s4, v51, 0
	v_lshrrev_b32_e32 v19, v2, v16
	v_or_b32_e32 v18, 0x1000, v4
	v_lshlrev_b32_e32 v21, v2, v19
	v_lshrrev_b32_e32 v20, v15, v18
	v_mov_b32_e32 v2, v12
	v_cmp_ne_u32_e32 vcc_lo, v21, v16
	v_lshlrev_b32_e32 v12, v15, v20
	v_add_nc_u32_e32 v15, 0xfffffc10, v13
	v_cndmask_b32_e64 v16, 0, 1, vcc_lo
	v_cmp_ne_u32_e32 vcc_lo, v12, v18
	v_mad_u64_u32 v[12:13], null, s5, v51, v[2:3]
	v_lshl_or_b32 v2, v15, 12, v17
	v_or_b32_e32 v13, v19, v16
	v_cndmask_b32_e64 v18, 0, 1, vcc_lo
	v_cmp_gt_i32_e32 vcc_lo, 1, v15
	v_lshl_or_b32 v16, v14, 12, v4
	v_lshrrev_b32_e32 v3, 16, v3
	v_or_b32_e32 v18, v20, v18
	v_cndmask_b32_e32 v2, v2, v13, vcc_lo
	v_cmp_gt_i32_e32 vcc_lo, 1, v14
	v_cndmask_b32_e32 v13, v16, v18, vcc_lo
	v_cmp_ne_u32_e32 vcc_lo, 0, v17
	v_and_b32_e32 v17, 7, v2
	v_lshrrev_b32_e32 v2, 2, v2
	v_and_b32_e32 v18, 7, v13
	v_cndmask_b32_e64 v16, 0, 1, vcc_lo
	v_cmp_ne_u32_e32 vcc_lo, 0, v4
	v_cmp_eq_u32_e64 s0, 3, v17
	v_lshrrev_b32_e32 v13, 2, v13
	v_cmp_lt_i32_e64 s1, 5, v18
	v_cmp_eq_u32_e64 s2, 3, v18
	v_cndmask_b32_e64 v4, 0, 1, vcc_lo
	v_cmp_lt_i32_e32 vcc_lo, 5, v17
	v_lshl_or_b32 v16, v16, 9, 0x7c00
	v_lshl_or_b32 v4, v4, 9, 0x7c00
	s_or_b32 vcc_lo, s0, vcc_lo
	v_add_co_ci_u32_e32 v2, vcc_lo, 0, v2, vcc_lo
	s_or_b32 vcc_lo, s2, s1
	v_add_co_ci_u32_e32 v13, vcc_lo, 0, v13, vcc_lo
	v_cmp_gt_i32_e32 vcc_lo, 31, v15
	v_cndmask_b32_e32 v2, 0x7c00, v2, vcc_lo
	v_cmp_gt_i32_e32 vcc_lo, 31, v14
	v_cndmask_b32_e32 v13, 0x7c00, v13, vcc_lo
	v_cmp_eq_u32_e32 vcc_lo, 0x40f, v15
	v_cndmask_b32_e32 v2, v2, v16, vcc_lo
	v_cmp_eq_u32_e32 vcc_lo, 0x40f, v14
	v_cndmask_b32_e32 v4, v13, v4, vcc_lo
	v_and_or_b32 v13, 0x8000, v3, v2
	v_lshlrev_b64 v[2:3], 2, v[11:12]
	v_and_or_b32 v4, 0x8000, v5, v4
	v_and_b32_e32 v5, 0xffff, v13
	v_add_co_u32 v2, vcc_lo, v8, v2
	v_add_co_ci_u32_e32 v3, vcc_lo, v9, v3, vcc_lo
	v_lshl_or_b32 v4, v4, 16, v5
	global_store_dword v[2:3], v4, off
	global_load_dword v2, v48, s[12:13] offset:1280
	s_waitcnt lgkmcnt(1)
	v_lshrrev_b32_e32 v3, 16, v6
	s_waitcnt vmcnt(0)
	v_mul_f16_sdwa v4, v3, v2 dst_sel:DWORD dst_unused:UNUSED_PAD src0_sel:DWORD src1_sel:WORD_1
	v_mul_f16_sdwa v5, v6, v2 dst_sel:DWORD dst_unused:UNUSED_PAD src0_sel:DWORD src1_sel:WORD_1
	v_fmac_f16_e32 v4, v6, v2
	v_fma_f16 v2, v2, v3, -v5
	v_cvt_f32_f16_e32 v3, v4
	v_cvt_f32_f16_e32 v4, v2
	v_cvt_f64_f32_e32 v[2:3], v3
	v_cvt_f64_f32_e32 v[4:5], v4
	v_mul_f64 v[2:3], v[2:3], s[8:9]
	v_mul_f64 v[4:5], v[4:5], s[8:9]
	v_and_or_b32 v2, 0x1ff, v3, v2
	v_and_or_b32 v4, 0x1ff, v5, v4
	v_lshrrev_b32_e32 v6, 8, v3
	v_bfe_u32 v13, v3, 20, 11
	v_lshrrev_b32_e32 v11, 8, v5
	v_cmp_ne_u32_e32 vcc_lo, 0, v2
	v_bfe_u32 v14, v5, 20, 11
	v_lshrrev_b32_e32 v5, 16, v5
	v_sub_nc_u32_e32 v12, 0x3f1, v13
	v_cndmask_b32_e64 v2, 0, 1, vcc_lo
	v_cmp_ne_u32_e32 vcc_lo, 0, v4
	v_sub_nc_u32_e32 v15, 0x3f1, v14
	v_add_nc_u32_e32 v14, 0xfffffc10, v14
	v_and_or_b32 v6, 0xffe, v6, v2
	v_cndmask_b32_e64 v4, 0, 1, vcc_lo
	v_med3_i32 v2, v12, 0, 13
	v_med3_i32 v15, v15, 0, 13
	v_or_b32_e32 v16, 0x1000, v6
	v_and_or_b32 v4, 0xffe, v11, v4
	v_mad_u64_u32 v[11:12], null, s4, v50, 0
	v_lshrrev_b32_e32 v18, v2, v16
	v_or_b32_e32 v17, 0x1000, v4
	v_lshlrev_b32_e32 v20, v2, v18
	v_lshrrev_b32_e32 v19, v15, v17
	v_mov_b32_e32 v2, v12
	v_cmp_ne_u32_e32 vcc_lo, v20, v16
	v_lshlrev_b32_e32 v12, v15, v19
	v_add_nc_u32_e32 v15, 0xfffffc10, v13
	v_cndmask_b32_e64 v16, 0, 1, vcc_lo
	v_cmp_ne_u32_e32 vcc_lo, v12, v17
	v_mad_u64_u32 v[12:13], null, s5, v50, v[2:3]
	v_lshl_or_b32 v2, v15, 12, v6
	v_or_b32_e32 v13, v18, v16
	v_cndmask_b32_e64 v17, 0, 1, vcc_lo
	v_cmp_gt_i32_e32 vcc_lo, 1, v15
	v_lshl_or_b32 v16, v14, 12, v4
	v_lshrrev_b32_e32 v3, 16, v3
	v_or_b32_e32 v17, v19, v17
	v_cndmask_b32_e32 v2, v2, v13, vcc_lo
	v_cmp_gt_i32_e32 vcc_lo, 1, v14
	v_cndmask_b32_e32 v13, v16, v17, vcc_lo
	v_cmp_ne_u32_e32 vcc_lo, 0, v6
	v_and_b32_e32 v16, 7, v2
	v_lshrrev_b32_e32 v2, 2, v2
	v_and_b32_e32 v17, 7, v13
	v_cndmask_b32_e64 v6, 0, 1, vcc_lo
	v_cmp_ne_u32_e32 vcc_lo, 0, v4
	v_cmp_eq_u32_e64 s0, 3, v16
	v_lshrrev_b32_e32 v13, 2, v13
	v_cmp_lt_i32_e64 s1, 5, v17
	v_cmp_eq_u32_e64 s2, 3, v17
	v_cndmask_b32_e64 v4, 0, 1, vcc_lo
	v_cmp_lt_i32_e32 vcc_lo, 5, v16
	v_lshl_or_b32 v6, v6, 9, 0x7c00
	v_lshl_or_b32 v4, v4, 9, 0x7c00
	s_or_b32 vcc_lo, s0, vcc_lo
	v_add_co_ci_u32_e32 v2, vcc_lo, 0, v2, vcc_lo
	s_or_b32 vcc_lo, s2, s1
	v_add_co_ci_u32_e32 v13, vcc_lo, 0, v13, vcc_lo
	v_cmp_gt_i32_e32 vcc_lo, 31, v15
	v_cndmask_b32_e32 v2, 0x7c00, v2, vcc_lo
	v_cmp_gt_i32_e32 vcc_lo, 31, v14
	v_cndmask_b32_e32 v13, 0x7c00, v13, vcc_lo
	v_cmp_eq_u32_e32 vcc_lo, 0x40f, v15
	v_cndmask_b32_e32 v2, v2, v6, vcc_lo
	v_cmp_eq_u32_e32 vcc_lo, 0x40f, v14
	v_and_or_b32 v6, 0x8000, v3, v2
	v_cndmask_b32_e32 v4, v13, v4, vcc_lo
	v_lshlrev_b64 v[2:3], 2, v[11:12]
	v_and_or_b32 v4, 0x8000, v5, v4
	v_and_b32_e32 v5, 0xffff, v6
	v_add_co_u32 v2, vcc_lo, v8, v2
	v_add_co_ci_u32_e32 v3, vcc_lo, v9, v3, vcc_lo
	v_lshl_or_b32 v4, v4, 16, v5
	global_store_dword v[2:3], v4, off
	global_load_dword v2, v48, s[12:13] offset:1536
	v_lshrrev_b32_e32 v3, 16, v7
	s_waitcnt vmcnt(0)
	v_mul_f16_sdwa v4, v3, v2 dst_sel:DWORD dst_unused:UNUSED_PAD src0_sel:DWORD src1_sel:WORD_1
	v_mul_f16_sdwa v5, v7, v2 dst_sel:DWORD dst_unused:UNUSED_PAD src0_sel:DWORD src1_sel:WORD_1
	v_fmac_f16_e32 v4, v7, v2
	v_fma_f16 v2, v2, v3, -v5
	v_cvt_f32_f16_e32 v3, v4
	v_cvt_f32_f16_e32 v4, v2
	v_cvt_f64_f32_e32 v[2:3], v3
	v_cvt_f64_f32_e32 v[4:5], v4
	v_mul_f64 v[2:3], v[2:3], s[8:9]
	v_mul_f64 v[4:5], v[4:5], s[8:9]
	v_and_or_b32 v2, 0x1ff, v3, v2
	v_and_or_b32 v4, 0x1ff, v5, v4
	v_lshrrev_b32_e32 v6, 8, v3
	v_bfe_u32 v11, v3, 20, 11
	v_bfe_u32 v12, v5, 20, 11
	v_cmp_ne_u32_e32 vcc_lo, 0, v2
	v_lshrrev_b32_e32 v7, 8, v5
	v_lshrrev_b32_e32 v5, 16, v5
	v_sub_nc_u32_e32 v13, 0x3f1, v11
	v_sub_nc_u32_e32 v14, 0x3f1, v12
	v_cndmask_b32_e64 v2, 0, 1, vcc_lo
	v_cmp_ne_u32_e32 vcc_lo, 0, v4
	v_add_nc_u32_e32 v20, 0xfffffc10, v12
	v_and_or_b32 v15, 0xffe, v6, v2
	v_cndmask_b32_e64 v4, 0, 1, vcc_lo
	v_med3_i32 v2, v13, 0, 13
	v_med3_i32 v13, v14, 0, 13
	v_or_b32_e32 v14, 0x1000, v15
	v_and_or_b32 v4, 0xffe, v7, v4
	v_mad_u64_u32 v[6:7], null, s4, v49, 0
	v_lshrrev_b32_e32 v17, v2, v14
	v_or_b32_e32 v16, 0x1000, v4
	v_lshlrev_b32_e32 v19, v2, v17
	v_lshrrev_b32_e32 v18, v13, v16
	v_mov_b32_e32 v2, v7
	v_cmp_ne_u32_e32 vcc_lo, v19, v14
	v_lshlrev_b32_e32 v7, v13, v18
	v_add_nc_u32_e32 v13, 0xfffffc10, v11
	v_mad_u64_u32 v[11:12], null, s5, v49, v[2:3]
	v_cndmask_b32_e64 v14, 0, 1, vcc_lo
	v_cmp_ne_u32_e32 vcc_lo, v7, v16
	v_lshl_or_b32 v2, v13, 12, v15
	v_lshrrev_b32_e32 v3, 16, v3
	v_or_b32_e32 v12, v17, v14
	v_cndmask_b32_e64 v7, 0, 1, vcc_lo
	v_cmp_gt_i32_e32 vcc_lo, 1, v13
	v_lshl_or_b32 v14, v20, 12, v4
	v_or_b32_e32 v7, v18, v7
	v_cndmask_b32_e32 v2, v2, v12, vcc_lo
	v_cmp_gt_i32_e32 vcc_lo, 1, v20
	v_cndmask_b32_e32 v7, v14, v7, vcc_lo
	v_cmp_ne_u32_e32 vcc_lo, 0, v15
	v_and_b32_e32 v14, 7, v2
	v_lshrrev_b32_e32 v2, 2, v2
	v_and_b32_e32 v15, 7, v7
	v_cndmask_b32_e64 v12, 0, 1, vcc_lo
	v_cmp_ne_u32_e32 vcc_lo, 0, v4
	v_cmp_eq_u32_e64 s0, 3, v14
	v_lshrrev_b32_e32 v7, 2, v7
	v_cmp_lt_i32_e64 s1, 5, v15
	v_cmp_eq_u32_e64 s2, 3, v15
	v_cndmask_b32_e64 v4, 0, 1, vcc_lo
	v_cmp_lt_i32_e32 vcc_lo, 5, v14
	v_lshl_or_b32 v12, v12, 9, 0x7c00
	v_lshl_or_b32 v4, v4, 9, 0x7c00
	s_or_b32 vcc_lo, s0, vcc_lo
	v_add_co_ci_u32_e32 v2, vcc_lo, 0, v2, vcc_lo
	s_or_b32 vcc_lo, s2, s1
	v_add_co_ci_u32_e32 v7, vcc_lo, 0, v7, vcc_lo
	v_cmp_gt_i32_e32 vcc_lo, 31, v13
	v_cndmask_b32_e32 v2, 0x7c00, v2, vcc_lo
	v_cmp_gt_i32_e32 vcc_lo, 31, v20
	v_cndmask_b32_e32 v14, 0x7c00, v7, vcc_lo
	v_cmp_eq_u32_e32 vcc_lo, 0x40f, v13
	v_mov_b32_e32 v7, v11
	v_cndmask_b32_e32 v2, v2, v12, vcc_lo
	v_cmp_eq_u32_e32 vcc_lo, 0x40f, v20
	v_and_or_b32 v11, 0x8000, v3, v2
	v_cndmask_b32_e32 v4, v14, v4, vcc_lo
	v_lshlrev_b64 v[2:3], 2, v[6:7]
	v_and_or_b32 v4, 0x8000, v5, v4
	v_and_b32_e32 v5, 0xffff, v11
	v_add_co_u32 v2, vcc_lo, v8, v2
	v_add_co_ci_u32_e32 v3, vcc_lo, v9, v3, vcc_lo
	v_lshl_or_b32 v4, v4, 16, v5
	global_store_dword v[2:3], v4, off
	global_load_dword v2, v48, s[12:13] offset:1792
	s_waitcnt lgkmcnt(0)
	v_lshrrev_b32_e32 v3, 16, v0
	s_waitcnt vmcnt(0)
	v_mul_f16_sdwa v4, v3, v2 dst_sel:DWORD dst_unused:UNUSED_PAD src0_sel:DWORD src1_sel:WORD_1
	v_mul_f16_sdwa v5, v0, v2 dst_sel:DWORD dst_unused:UNUSED_PAD src0_sel:DWORD src1_sel:WORD_1
	v_fmac_f16_e32 v4, v0, v2
	v_fma_f16 v0, v2, v3, -v5
	v_cvt_f32_f16_e32 v2, v4
	v_cvt_f32_f16_e32 v0, v0
	v_cvt_f64_f32_e32 v[2:3], v2
	v_cvt_f64_f32_e32 v[4:5], v0
	v_mul_f64 v[2:3], v[2:3], s[8:9]
	v_mul_f64 v[4:5], v[4:5], s[8:9]
	v_and_or_b32 v0, 0x1ff, v3, v2
	v_and_or_b32 v4, 0x1ff, v5, v4
	v_lshrrev_b32_e32 v2, 8, v3
	v_bfe_u32 v11, v3, 20, 11
	v_lshrrev_b32_e32 v6, 8, v5
	v_cmp_ne_u32_e32 vcc_lo, 0, v0
	v_bfe_u32 v12, v5, 20, 11
	v_lshrrev_b32_e32 v3, 16, v3
	v_sub_nc_u32_e32 v7, 0x3f1, v11
	v_lshrrev_b32_e32 v5, 16, v5
	v_cndmask_b32_e64 v0, 0, 1, vcc_lo
	v_cmp_ne_u32_e32 vcc_lo, 0, v4
	v_sub_nc_u32_e32 v13, 0x3f1, v12
	v_add_nc_u32_e32 v19, 0xfffffc10, v12
	v_and_or_b32 v2, 0xffe, v2, v0
	v_cndmask_b32_e64 v4, 0, 1, vcc_lo
	v_med3_i32 v0, v7, 0, 13
	v_med3_i32 v13, v13, 0, 13
	v_or_b32_e32 v14, 0x1000, v2
	v_and_or_b32 v4, 0xffe, v6, v4
	v_mad_u64_u32 v[6:7], null, s4, v47, 0
	v_lshrrev_b32_e32 v16, v0, v14
	v_or_b32_e32 v15, 0x1000, v4
	v_lshlrev_b32_e32 v18, v0, v16
	v_lshrrev_b32_e32 v17, v13, v15
	v_mov_b32_e32 v0, v7
	v_cmp_ne_u32_e32 vcc_lo, v18, v14
	v_lshlrev_b32_e32 v7, v13, v17
	v_add_nc_u32_e32 v13, 0xfffffc10, v11
	v_mad_u64_u32 v[11:12], null, s5, v47, v[0:1]
	v_cndmask_b32_e64 v14, 0, 1, vcc_lo
	v_cmp_ne_u32_e32 vcc_lo, v7, v15
	v_lshl_or_b32 v0, v13, 12, v2
	v_or_b32_e32 v12, v16, v14
	v_cndmask_b32_e64 v7, 0, 1, vcc_lo
	v_cmp_gt_i32_e32 vcc_lo, 1, v13
	v_lshl_or_b32 v14, v19, 12, v4
	v_or_b32_e32 v7, v17, v7
	v_cndmask_b32_e32 v0, v0, v12, vcc_lo
	v_cmp_gt_i32_e32 vcc_lo, 1, v19
	v_and_b32_e32 v12, 7, v0
	v_cndmask_b32_e32 v7, v14, v7, vcc_lo
	v_cmp_ne_u32_e32 vcc_lo, 0, v2
	v_lshrrev_b32_e32 v0, 2, v0
	v_cmp_eq_u32_e64 s0, 3, v12
	v_and_b32_e32 v14, 7, v7
	v_cndmask_b32_e64 v2, 0, 1, vcc_lo
	v_cmp_ne_u32_e32 vcc_lo, 0, v4
	v_lshrrev_b32_e32 v7, 2, v7
	v_cmp_lt_i32_e64 s1, 5, v14
	v_cmp_eq_u32_e64 s2, 3, v14
	v_cndmask_b32_e64 v4, 0, 1, vcc_lo
	v_cmp_lt_i32_e32 vcc_lo, 5, v12
	v_lshl_or_b32 v2, v2, 9, 0x7c00
	v_lshl_or_b32 v4, v4, 9, 0x7c00
	s_or_b32 vcc_lo, s0, vcc_lo
	v_add_co_ci_u32_e32 v0, vcc_lo, 0, v0, vcc_lo
	s_or_b32 vcc_lo, s2, s1
	v_add_co_ci_u32_e32 v7, vcc_lo, 0, v7, vcc_lo
	v_cmp_gt_i32_e32 vcc_lo, 31, v13
	v_cndmask_b32_e32 v0, 0x7c00, v0, vcc_lo
	v_cmp_gt_i32_e32 vcc_lo, 31, v19
	v_cndmask_b32_e32 v12, 0x7c00, v7, vcc_lo
	v_cmp_eq_u32_e32 vcc_lo, 0x40f, v13
	v_mov_b32_e32 v7, v11
	v_cndmask_b32_e32 v0, v0, v2, vcc_lo
	v_cmp_eq_u32_e32 vcc_lo, 0x40f, v19
	v_and_or_b32 v0, 0x8000, v3, v0
	v_cndmask_b32_e32 v4, v12, v4, vcc_lo
	v_lshlrev_b64 v[2:3], 2, v[6:7]
	v_and_b32_e32 v0, 0xffff, v0
	v_and_or_b32 v4, 0x8000, v5, v4
	v_add_co_u32 v2, vcc_lo, v8, v2
	v_add_co_ci_u32_e32 v3, vcc_lo, v9, v3, vcc_lo
	v_lshl_or_b32 v0, v4, 16, v0
	v_lshlrev_b32_e32 v4, 2, v46
	global_store_dword v[2:3], v0, off
	global_load_dword v0, v4, s[12:13]
	v_lshrrev_b32_e32 v2, 16, v1
	s_waitcnt vmcnt(0)
	v_mul_f16_sdwa v3, v2, v0 dst_sel:DWORD dst_unused:UNUSED_PAD src0_sel:DWORD src1_sel:WORD_1
	v_mul_f16_sdwa v4, v1, v0 dst_sel:DWORD dst_unused:UNUSED_PAD src0_sel:DWORD src1_sel:WORD_1
	v_fmac_f16_e32 v3, v1, v0
	v_fma_f16 v0, v0, v2, -v4
	v_cvt_f32_f16_e32 v1, v3
	v_cvt_f32_f16_e32 v2, v0
	v_cvt_f64_f32_e32 v[0:1], v1
	v_cvt_f64_f32_e32 v[2:3], v2
	v_mul_f64 v[0:1], v[0:1], s[8:9]
	v_mul_f64 v[2:3], v[2:3], s[8:9]
	v_and_or_b32 v0, 0x1ff, v1, v0
	v_and_or_b32 v2, 0x1ff, v3, v2
	v_lshrrev_b32_e32 v4, 8, v1
	v_bfe_u32 v6, v1, 20, 11
	v_bfe_u32 v7, v3, 20, 11
	v_cmp_ne_u32_e32 vcc_lo, 0, v0
	v_lshrrev_b32_e32 v5, 8, v3
	v_lshrrev_b32_e32 v3, 16, v3
	v_sub_nc_u32_e32 v11, 0x3f1, v6
	v_sub_nc_u32_e32 v12, 0x3f1, v7
	v_cndmask_b32_e64 v0, 0, 1, vcc_lo
	v_cmp_ne_u32_e32 vcc_lo, 0, v2
	v_add_nc_u32_e32 v7, 0xfffffc10, v7
	v_and_or_b32 v13, 0xffe, v4, v0
	v_cndmask_b32_e64 v2, 0, 1, vcc_lo
	v_med3_i32 v0, v11, 0, 13
	v_med3_i32 v11, v12, 0, 13
	v_or_b32_e32 v12, 0x1000, v13
	v_and_or_b32 v2, 0xffe, v5, v2
	v_mad_u64_u32 v[4:5], null, s4, v46, 0
	v_lshrrev_b32_e32 v15, v0, v12
	v_or_b32_e32 v14, 0x1000, v2
	v_lshlrev_b32_e32 v17, v0, v15
	v_lshrrev_b32_e32 v16, v11, v14
	v_mov_b32_e32 v0, v5
	v_cmp_ne_u32_e32 vcc_lo, v17, v12
	v_lshlrev_b32_e32 v5, v11, v16
	v_add_nc_u32_e32 v11, 0xfffffc10, v6
	v_cndmask_b32_e64 v12, 0, 1, vcc_lo
	v_cmp_ne_u32_e32 vcc_lo, v5, v14
	v_mad_u64_u32 v[5:6], null, s5, v46, v[0:1]
	v_lshl_or_b32 v0, v11, 12, v13
	v_or_b32_e32 v6, v15, v12
	v_cndmask_b32_e64 v14, 0, 1, vcc_lo
	v_cmp_gt_i32_e32 vcc_lo, 1, v11
	v_lshl_or_b32 v12, v7, 12, v2
	v_lshrrev_b32_e32 v1, 16, v1
	v_or_b32_e32 v14, v16, v14
	v_cndmask_b32_e32 v0, v0, v6, vcc_lo
	v_cmp_gt_i32_e32 vcc_lo, 1, v7
	v_cndmask_b32_e32 v6, v12, v14, vcc_lo
	v_cmp_ne_u32_e32 vcc_lo, 0, v13
	v_and_b32_e32 v13, 7, v0
	v_lshrrev_b32_e32 v0, 2, v0
	v_and_b32_e32 v14, 7, v6
	v_cndmask_b32_e64 v12, 0, 1, vcc_lo
	v_cmp_ne_u32_e32 vcc_lo, 0, v2
	v_cmp_eq_u32_e64 s0, 3, v13
	v_lshrrev_b32_e32 v6, 2, v6
	v_cmp_lt_i32_e64 s1, 5, v14
	v_cmp_eq_u32_e64 s2, 3, v14
	v_cndmask_b32_e64 v2, 0, 1, vcc_lo
	v_cmp_lt_i32_e32 vcc_lo, 5, v13
	v_lshl_or_b32 v12, v12, 9, 0x7c00
	v_lshl_or_b32 v2, v2, 9, 0x7c00
	s_or_b32 vcc_lo, s0, vcc_lo
	v_add_co_ci_u32_e32 v0, vcc_lo, 0, v0, vcc_lo
	s_or_b32 vcc_lo, s2, s1
	v_add_co_ci_u32_e32 v6, vcc_lo, 0, v6, vcc_lo
	v_cmp_gt_i32_e32 vcc_lo, 31, v11
	v_cndmask_b32_e32 v0, 0x7c00, v0, vcc_lo
	v_cmp_gt_i32_e32 vcc_lo, 31, v7
	v_cndmask_b32_e32 v6, 0x7c00, v6, vcc_lo
	v_cmp_eq_u32_e32 vcc_lo, 0x40f, v11
	v_cndmask_b32_e32 v0, v0, v12, vcc_lo
	v_cmp_eq_u32_e32 vcc_lo, 0x40f, v7
	v_cndmask_b32_e32 v2, v6, v2, vcc_lo
	v_and_or_b32 v6, 0x8000, v1, v0
	v_lshlrev_b64 v[0:1], 2, v[4:5]
	v_and_or_b32 v2, 0x8000, v3, v2
	v_and_b32_e32 v3, 0xffff, v6
	v_add_co_u32 v0, vcc_lo, v8, v0
	v_add_co_ci_u32_e32 v1, vcc_lo, v9, v1, vcc_lo
	v_lshl_or_b32 v2, v2, 16, v3
	v_lshlrev_b32_e32 v3, 2, v45
	global_store_dword v[0:1], v2, off
	global_load_dword v11, v3, s[12:13]
	ds_read2st64_b32 v[2:3], v10 offset0:9 offset1:10
	ds_read2st64_b32 v[4:5], v10 offset0:11 offset1:12
	;; [unrolled: 1-line block ×4, first 2 shown]
	s_waitcnt lgkmcnt(3)
	v_lshrrev_b32_e32 v10, 16, v2
	s_waitcnt vmcnt(0)
	v_mul_f16_sdwa v12, v10, v11 dst_sel:DWORD dst_unused:UNUSED_PAD src0_sel:DWORD src1_sel:WORD_1
	v_mul_f16_sdwa v13, v2, v11 dst_sel:DWORD dst_unused:UNUSED_PAD src0_sel:DWORD src1_sel:WORD_1
	v_fmac_f16_e32 v12, v2, v11
	v_fma_f16 v2, v11, v10, -v13
	v_cvt_f32_f16_e32 v10, v12
	v_cvt_f32_f16_e32 v2, v2
	v_cvt_f64_f32_e32 v[10:11], v10
	v_cvt_f64_f32_e32 v[12:13], v2
	v_mul_f64 v[10:11], v[10:11], s[8:9]
	v_mul_f64 v[12:13], v[12:13], s[8:9]
	v_and_or_b32 v2, 0x1ff, v11, v10
	v_and_or_b32 v12, 0x1ff, v13, v12
	v_lshrrev_b32_e32 v10, 8, v11
	v_bfe_u32 v16, v11, 20, 11
	v_lshrrev_b32_e32 v14, 8, v13
	v_cmp_ne_u32_e32 vcc_lo, 0, v2
	v_bfe_u32 v17, v13, 20, 11
	v_lshrrev_b32_e32 v11, 16, v11
	v_sub_nc_u32_e32 v15, 0x3f1, v16
	v_lshrrev_b32_e32 v13, 16, v13
	v_cndmask_b32_e64 v2, 0, 1, vcc_lo
	v_cmp_ne_u32_e32 vcc_lo, 0, v12
	v_sub_nc_u32_e32 v18, 0x3f1, v17
	v_add_nc_u32_e32 v17, 0xfffffc10, v17
	v_and_or_b32 v10, 0xffe, v10, v2
	v_cndmask_b32_e64 v12, 0, 1, vcc_lo
	v_med3_i32 v2, v15, 0, 13
	v_med3_i32 v18, v18, 0, 13
	v_or_b32_e32 v19, 0x1000, v10
	v_and_or_b32 v12, 0xffe, v14, v12
	v_mad_u64_u32 v[14:15], null, s4, v45, 0
	v_lshrrev_b32_e32 v21, v2, v19
	v_or_b32_e32 v20, 0x1000, v12
	v_lshlrev_b32_e32 v23, v2, v21
	v_lshrrev_b32_e32 v22, v18, v20
	v_mov_b32_e32 v2, v15
	v_cmp_ne_u32_e32 vcc_lo, v23, v19
	v_lshlrev_b32_e32 v15, v18, v22
	v_add_nc_u32_e32 v18, 0xfffffc10, v16
	v_cndmask_b32_e64 v19, 0, 1, vcc_lo
	v_cmp_ne_u32_e32 vcc_lo, v15, v20
	v_mad_u64_u32 v[15:16], null, s5, v45, v[2:3]
	v_lshl_or_b32 v2, v18, 12, v10
	v_or_b32_e32 v16, v21, v19
	v_cndmask_b32_e64 v20, 0, 1, vcc_lo
	v_cmp_gt_i32_e32 vcc_lo, 1, v18
	v_lshl_or_b32 v19, v17, 12, v12
	v_or_b32_e32 v20, v22, v20
	v_cndmask_b32_e32 v2, v2, v16, vcc_lo
	v_cmp_gt_i32_e32 vcc_lo, 1, v17
	v_cndmask_b32_e32 v16, v19, v20, vcc_lo
	v_cmp_ne_u32_e32 vcc_lo, 0, v10
	v_and_b32_e32 v19, 7, v2
	v_lshrrev_b32_e32 v2, 2, v2
	v_and_b32_e32 v20, 7, v16
	v_cndmask_b32_e64 v10, 0, 1, vcc_lo
	v_cmp_ne_u32_e32 vcc_lo, 0, v12
	v_cmp_eq_u32_e64 s0, 3, v19
	v_lshrrev_b32_e32 v16, 2, v16
	v_cmp_lt_i32_e64 s1, 5, v20
	v_cmp_eq_u32_e64 s2, 3, v20
	v_cndmask_b32_e64 v12, 0, 1, vcc_lo
	v_cmp_lt_i32_e32 vcc_lo, 5, v19
	v_lshl_or_b32 v10, v10, 9, 0x7c00
	v_lshl_or_b32 v12, v12, 9, 0x7c00
	s_or_b32 vcc_lo, s0, vcc_lo
	v_add_co_ci_u32_e32 v2, vcc_lo, 0, v2, vcc_lo
	s_or_b32 vcc_lo, s2, s1
	v_add_co_ci_u32_e32 v16, vcc_lo, 0, v16, vcc_lo
	v_cmp_gt_i32_e32 vcc_lo, 31, v18
	v_cndmask_b32_e32 v2, 0x7c00, v2, vcc_lo
	v_cmp_gt_i32_e32 vcc_lo, 31, v17
	v_cndmask_b32_e32 v16, 0x7c00, v16, vcc_lo
	v_cmp_eq_u32_e32 vcc_lo, 0x40f, v18
	v_cndmask_b32_e32 v2, v2, v10, vcc_lo
	v_cmp_eq_u32_e32 vcc_lo, 0x40f, v17
	v_and_or_b32 v2, 0x8000, v11, v2
	v_cndmask_b32_e32 v12, v16, v12, vcc_lo
	v_lshlrev_b64 v[10:11], 2, v[14:15]
	v_and_b32_e32 v2, 0xffff, v2
	v_and_or_b32 v12, 0x8000, v13, v12
	v_add_co_u32 v10, vcc_lo, v8, v10
	v_add_co_ci_u32_e32 v11, vcc_lo, v9, v11, vcc_lo
	v_lshl_or_b32 v2, v12, 16, v2
	v_lshlrev_b32_e32 v12, 2, v44
	global_store_dword v[10:11], v2, off
	global_load_dword v2, v12, s[12:13]
	v_lshrrev_b32_e32 v10, 16, v3
	s_waitcnt vmcnt(0)
	v_mul_f16_sdwa v11, v10, v2 dst_sel:DWORD dst_unused:UNUSED_PAD src0_sel:DWORD src1_sel:WORD_1
	v_mul_f16_sdwa v12, v3, v2 dst_sel:DWORD dst_unused:UNUSED_PAD src0_sel:DWORD src1_sel:WORD_1
	v_fmac_f16_e32 v11, v3, v2
	v_fma_f16 v2, v2, v10, -v12
	v_cvt_f32_f16_e32 v3, v11
	v_cvt_f32_f16_e32 v10, v2
	v_cvt_f64_f32_e32 v[2:3], v3
	v_cvt_f64_f32_e32 v[10:11], v10
	v_mul_f64 v[2:3], v[2:3], s[8:9]
	v_mul_f64 v[10:11], v[10:11], s[8:9]
	v_and_or_b32 v2, 0x1ff, v3, v2
	v_and_or_b32 v10, 0x1ff, v11, v10
	v_lshrrev_b32_e32 v12, 8, v3
	v_bfe_u32 v14, v3, 20, 11
	v_bfe_u32 v15, v11, 20, 11
	v_cmp_ne_u32_e32 vcc_lo, 0, v2
	v_lshrrev_b32_e32 v13, 8, v11
	v_lshrrev_b32_e32 v11, 16, v11
	v_sub_nc_u32_e32 v16, 0x3f1, v14
	v_sub_nc_u32_e32 v17, 0x3f1, v15
	v_cndmask_b32_e64 v2, 0, 1, vcc_lo
	v_cmp_ne_u32_e32 vcc_lo, 0, v10
	v_add_nc_u32_e32 v15, 0xfffffc10, v15
	v_and_or_b32 v18, 0xffe, v12, v2
	v_cndmask_b32_e64 v10, 0, 1, vcc_lo
	v_med3_i32 v2, v16, 0, 13
	v_med3_i32 v16, v17, 0, 13
	v_or_b32_e32 v17, 0x1000, v18
	v_and_or_b32 v10, 0xffe, v13, v10
	v_mad_u64_u32 v[12:13], null, s4, v44, 0
	v_lshrrev_b32_e32 v20, v2, v17
	v_or_b32_e32 v19, 0x1000, v10
	v_lshlrev_b32_e32 v22, v2, v20
	v_lshrrev_b32_e32 v21, v16, v19
	v_mov_b32_e32 v2, v13
	v_cmp_ne_u32_e32 vcc_lo, v22, v17
	v_lshlrev_b32_e32 v13, v16, v21
	v_add_nc_u32_e32 v16, 0xfffffc10, v14
	v_cndmask_b32_e64 v17, 0, 1, vcc_lo
	v_cmp_ne_u32_e32 vcc_lo, v13, v19
	v_mad_u64_u32 v[13:14], null, s5, v44, v[2:3]
	v_lshl_or_b32 v2, v16, 12, v18
	v_or_b32_e32 v14, v20, v17
	v_cndmask_b32_e64 v19, 0, 1, vcc_lo
	v_cmp_gt_i32_e32 vcc_lo, 1, v16
	v_lshl_or_b32 v17, v15, 12, v10
	v_lshrrev_b32_e32 v3, 16, v3
	v_or_b32_e32 v19, v21, v19
	v_cndmask_b32_e32 v2, v2, v14, vcc_lo
	v_cmp_gt_i32_e32 vcc_lo, 1, v15
	v_cndmask_b32_e32 v14, v17, v19, vcc_lo
	v_cmp_ne_u32_e32 vcc_lo, 0, v18
	v_and_b32_e32 v18, 7, v2
	v_lshrrev_b32_e32 v2, 2, v2
	v_and_b32_e32 v19, 7, v14
	v_cndmask_b32_e64 v17, 0, 1, vcc_lo
	v_cmp_ne_u32_e32 vcc_lo, 0, v10
	v_cmp_eq_u32_e64 s0, 3, v18
	v_lshrrev_b32_e32 v14, 2, v14
	v_cmp_lt_i32_e64 s1, 5, v19
	v_cmp_eq_u32_e64 s2, 3, v19
	v_cndmask_b32_e64 v10, 0, 1, vcc_lo
	v_cmp_lt_i32_e32 vcc_lo, 5, v18
	v_lshl_or_b32 v17, v17, 9, 0x7c00
	v_lshl_or_b32 v10, v10, 9, 0x7c00
	s_or_b32 vcc_lo, s0, vcc_lo
	v_add_co_ci_u32_e32 v2, vcc_lo, 0, v2, vcc_lo
	s_or_b32 vcc_lo, s2, s1
	v_add_co_ci_u32_e32 v14, vcc_lo, 0, v14, vcc_lo
	v_cmp_gt_i32_e32 vcc_lo, 31, v16
	v_cndmask_b32_e32 v2, 0x7c00, v2, vcc_lo
	v_cmp_gt_i32_e32 vcc_lo, 31, v15
	v_cndmask_b32_e32 v14, 0x7c00, v14, vcc_lo
	v_cmp_eq_u32_e32 vcc_lo, 0x40f, v16
	v_cndmask_b32_e32 v2, v2, v17, vcc_lo
	v_cmp_eq_u32_e32 vcc_lo, 0x40f, v15
	v_cndmask_b32_e32 v10, v14, v10, vcc_lo
	v_and_or_b32 v14, 0x8000, v3, v2
	v_lshlrev_b64 v[2:3], 2, v[12:13]
	v_and_or_b32 v10, 0x8000, v11, v10
	v_and_b32_e32 v11, 0xffff, v14
	v_add_co_u32 v2, vcc_lo, v8, v2
	v_add_co_ci_u32_e32 v3, vcc_lo, v9, v3, vcc_lo
	v_lshl_or_b32 v10, v10, 16, v11
	v_lshlrev_b32_e32 v11, 2, v43
	global_store_dword v[2:3], v10, off
	global_load_dword v2, v11, s[12:13]
	s_waitcnt lgkmcnt(2)
	v_lshrrev_b32_e32 v3, 16, v4
	s_waitcnt vmcnt(0)
	v_mul_f16_sdwa v10, v3, v2 dst_sel:DWORD dst_unused:UNUSED_PAD src0_sel:DWORD src1_sel:WORD_1
	v_mul_f16_sdwa v11, v4, v2 dst_sel:DWORD dst_unused:UNUSED_PAD src0_sel:DWORD src1_sel:WORD_1
	v_fmac_f16_e32 v10, v4, v2
	v_fma_f16 v2, v2, v3, -v11
	v_cvt_f32_f16_e32 v3, v10
	v_cvt_f32_f16_e32 v4, v2
	v_cvt_f64_f32_e32 v[2:3], v3
	v_cvt_f64_f32_e32 v[10:11], v4
	v_mul_f64 v[2:3], v[2:3], s[8:9]
	v_mul_f64 v[10:11], v[10:11], s[8:9]
	v_and_or_b32 v2, 0x1ff, v3, v2
	v_and_or_b32 v10, 0x1ff, v11, v10
	v_lshrrev_b32_e32 v4, 8, v3
	v_bfe_u32 v14, v3, 20, 11
	v_lshrrev_b32_e32 v12, 8, v11
	v_cmp_ne_u32_e32 vcc_lo, 0, v2
	v_bfe_u32 v15, v11, 20, 11
	v_sub_nc_u32_e32 v13, 0x3f1, v14
	v_cndmask_b32_e64 v2, 0, 1, vcc_lo
	v_cmp_ne_u32_e32 vcc_lo, 0, v10
	v_sub_nc_u32_e32 v16, 0x3f1, v15
	v_add_nc_u32_e32 v15, 0xfffffc10, v15
	v_and_or_b32 v4, 0xffe, v4, v2
	v_cndmask_b32_e64 v10, 0, 1, vcc_lo
	v_med3_i32 v2, v13, 0, 13
	v_med3_i32 v16, v16, 0, 13
	v_or_b32_e32 v17, 0x1000, v4
	v_and_or_b32 v10, 0xffe, v12, v10
	v_mad_u64_u32 v[12:13], null, s4, v43, 0
	v_lshrrev_b32_e32 v19, v2, v17
	v_or_b32_e32 v18, 0x1000, v10
	v_lshlrev_b32_e32 v21, v2, v19
	v_lshrrev_b32_e32 v20, v16, v18
	v_mov_b32_e32 v2, v13
	v_cmp_ne_u32_e32 vcc_lo, v21, v17
	v_lshlrev_b32_e32 v13, v16, v20
	v_add_nc_u32_e32 v16, 0xfffffc10, v14
	v_cndmask_b32_e64 v17, 0, 1, vcc_lo
	v_cmp_ne_u32_e32 vcc_lo, v13, v18
	v_mad_u64_u32 v[13:14], null, s5, v43, v[2:3]
	v_lshl_or_b32 v2, v16, 12, v4
	v_or_b32_e32 v14, v19, v17
	v_cndmask_b32_e64 v18, 0, 1, vcc_lo
	v_cmp_gt_i32_e32 vcc_lo, 1, v16
	v_lshl_or_b32 v17, v15, 12, v10
	v_lshrrev_b32_e32 v3, 16, v3
	v_or_b32_e32 v18, v20, v18
	v_cndmask_b32_e32 v2, v2, v14, vcc_lo
	v_cmp_gt_i32_e32 vcc_lo, 1, v15
	v_cndmask_b32_e32 v14, v17, v18, vcc_lo
	v_cmp_ne_u32_e32 vcc_lo, 0, v4
	v_and_b32_e32 v17, 7, v2
	v_lshrrev_b32_e32 v2, 2, v2
	v_and_b32_e32 v18, 7, v14
	v_cndmask_b32_e64 v4, 0, 1, vcc_lo
	v_cmp_ne_u32_e32 vcc_lo, 0, v10
	v_cmp_eq_u32_e64 s0, 3, v17
	v_lshrrev_b32_e32 v14, 2, v14
	v_cmp_lt_i32_e64 s1, 5, v18
	v_cmp_eq_u32_e64 s2, 3, v18
	v_cndmask_b32_e64 v10, 0, 1, vcc_lo
	v_cmp_lt_i32_e32 vcc_lo, 5, v17
	v_lshl_or_b32 v4, v4, 9, 0x7c00
	v_lshl_or_b32 v10, v10, 9, 0x7c00
	s_or_b32 vcc_lo, s0, vcc_lo
	v_add_co_ci_u32_e32 v2, vcc_lo, 0, v2, vcc_lo
	s_or_b32 vcc_lo, s2, s1
	v_add_co_ci_u32_e32 v14, vcc_lo, 0, v14, vcc_lo
	v_cmp_gt_i32_e32 vcc_lo, 31, v16
	v_cndmask_b32_e32 v2, 0x7c00, v2, vcc_lo
	v_cmp_gt_i32_e32 vcc_lo, 31, v15
	v_cndmask_b32_e32 v14, 0x7c00, v14, vcc_lo
	v_cmp_eq_u32_e32 vcc_lo, 0x40f, v16
	v_cndmask_b32_e32 v2, v2, v4, vcc_lo
	v_cmp_eq_u32_e32 vcc_lo, 0x40f, v15
	v_lshrrev_b32_e32 v4, 16, v11
	v_and_or_b32 v11, 0x8000, v3, v2
	v_cndmask_b32_e32 v10, v14, v10, vcc_lo
	v_lshlrev_b64 v[2:3], 2, v[12:13]
	v_and_or_b32 v4, 0x8000, v4, v10
	v_and_b32_e32 v10, 0xffff, v11
	v_add_co_u32 v2, vcc_lo, v8, v2
	v_add_co_ci_u32_e32 v3, vcc_lo, v9, v3, vcc_lo
	v_lshl_or_b32 v4, v4, 16, v10
	v_lshlrev_b32_e32 v10, 2, v42
	global_store_dword v[2:3], v4, off
	global_load_dword v2, v10, s[12:13]
	v_lshrrev_b32_e32 v3, 16, v5
	s_waitcnt vmcnt(0)
	v_mul_f16_sdwa v4, v3, v2 dst_sel:DWORD dst_unused:UNUSED_PAD src0_sel:DWORD src1_sel:WORD_1
	v_mul_f16_sdwa v10, v5, v2 dst_sel:DWORD dst_unused:UNUSED_PAD src0_sel:DWORD src1_sel:WORD_1
	v_fmac_f16_e32 v4, v5, v2
	v_fma_f16 v2, v2, v3, -v10
	v_cvt_f32_f16_e32 v3, v4
	v_cvt_f32_f16_e32 v4, v2
	v_cvt_f64_f32_e32 v[2:3], v3
	v_cvt_f64_f32_e32 v[4:5], v4
	v_mul_f64 v[2:3], v[2:3], s[8:9]
	v_mul_f64 v[4:5], v[4:5], s[8:9]
	v_and_or_b32 v2, 0x1ff, v3, v2
	v_and_or_b32 v4, 0x1ff, v5, v4
	v_lshrrev_b32_e32 v10, 8, v3
	v_bfe_u32 v12, v3, 20, 11
	v_bfe_u32 v13, v5, 20, 11
	v_cmp_ne_u32_e32 vcc_lo, 0, v2
	v_lshrrev_b32_e32 v11, 8, v5
	v_lshrrev_b32_e32 v5, 16, v5
	v_sub_nc_u32_e32 v14, 0x3f1, v12
	v_sub_nc_u32_e32 v15, 0x3f1, v13
	v_cndmask_b32_e64 v2, 0, 1, vcc_lo
	v_cmp_ne_u32_e32 vcc_lo, 0, v4
	v_add_nc_u32_e32 v13, 0xfffffc10, v13
	v_and_or_b32 v16, 0xffe, v10, v2
	v_cndmask_b32_e64 v4, 0, 1, vcc_lo
	v_med3_i32 v2, v14, 0, 13
	v_med3_i32 v14, v15, 0, 13
	v_or_b32_e32 v15, 0x1000, v16
	v_and_or_b32 v4, 0xffe, v11, v4
	v_mad_u64_u32 v[10:11], null, s4, v42, 0
	v_lshrrev_b32_e32 v18, v2, v15
	v_or_b32_e32 v17, 0x1000, v4
	v_lshlrev_b32_e32 v20, v2, v18
	v_lshrrev_b32_e32 v19, v14, v17
	v_mov_b32_e32 v2, v11
	v_cmp_ne_u32_e32 vcc_lo, v20, v15
	v_lshlrev_b32_e32 v11, v14, v19
	v_add_nc_u32_e32 v14, 0xfffffc10, v12
	v_cndmask_b32_e64 v15, 0, 1, vcc_lo
	v_cmp_ne_u32_e32 vcc_lo, v11, v17
	v_mad_u64_u32 v[11:12], null, s5, v42, v[2:3]
	v_lshl_or_b32 v2, v14, 12, v16
	v_or_b32_e32 v12, v18, v15
	v_cndmask_b32_e64 v17, 0, 1, vcc_lo
	v_cmp_gt_i32_e32 vcc_lo, 1, v14
	v_lshl_or_b32 v15, v13, 12, v4
	v_lshrrev_b32_e32 v3, 16, v3
	v_or_b32_e32 v17, v19, v17
	v_cndmask_b32_e32 v2, v2, v12, vcc_lo
	v_cmp_gt_i32_e32 vcc_lo, 1, v13
	v_cndmask_b32_e32 v12, v15, v17, vcc_lo
	v_cmp_ne_u32_e32 vcc_lo, 0, v16
	v_and_b32_e32 v16, 7, v2
	v_lshrrev_b32_e32 v2, 2, v2
	v_and_b32_e32 v17, 7, v12
	v_cndmask_b32_e64 v15, 0, 1, vcc_lo
	v_cmp_ne_u32_e32 vcc_lo, 0, v4
	v_cmp_eq_u32_e64 s0, 3, v16
	v_lshrrev_b32_e32 v12, 2, v12
	v_cmp_lt_i32_e64 s1, 5, v17
	v_cmp_eq_u32_e64 s2, 3, v17
	v_cndmask_b32_e64 v4, 0, 1, vcc_lo
	v_cmp_lt_i32_e32 vcc_lo, 5, v16
	v_lshl_or_b32 v15, v15, 9, 0x7c00
	v_lshl_or_b32 v4, v4, 9, 0x7c00
	s_or_b32 vcc_lo, s0, vcc_lo
	v_add_co_ci_u32_e32 v2, vcc_lo, 0, v2, vcc_lo
	s_or_b32 vcc_lo, s2, s1
	v_add_co_ci_u32_e32 v12, vcc_lo, 0, v12, vcc_lo
	v_cmp_gt_i32_e32 vcc_lo, 31, v14
	v_cndmask_b32_e32 v2, 0x7c00, v2, vcc_lo
	v_cmp_gt_i32_e32 vcc_lo, 31, v13
	v_cndmask_b32_e32 v12, 0x7c00, v12, vcc_lo
	v_cmp_eq_u32_e32 vcc_lo, 0x40f, v14
	v_cndmask_b32_e32 v2, v2, v15, vcc_lo
	v_cmp_eq_u32_e32 vcc_lo, 0x40f, v13
	v_cndmask_b32_e32 v4, v12, v4, vcc_lo
	v_and_or_b32 v12, 0x8000, v3, v2
	v_lshlrev_b64 v[2:3], 2, v[10:11]
	v_and_or_b32 v4, 0x8000, v5, v4
	v_and_b32_e32 v5, 0xffff, v12
	v_add_co_u32 v2, vcc_lo, v8, v2
	v_add_co_ci_u32_e32 v3, vcc_lo, v9, v3, vcc_lo
	v_lshl_or_b32 v4, v4, 16, v5
	v_lshlrev_b32_e32 v5, 2, v41
	global_store_dword v[2:3], v4, off
	global_load_dword v2, v5, s[12:13]
	s_waitcnt lgkmcnt(1)
	v_lshrrev_b32_e32 v3, 16, v6
	s_waitcnt vmcnt(0)
	v_mul_f16_sdwa v4, v3, v2 dst_sel:DWORD dst_unused:UNUSED_PAD src0_sel:DWORD src1_sel:WORD_1
	v_mul_f16_sdwa v5, v6, v2 dst_sel:DWORD dst_unused:UNUSED_PAD src0_sel:DWORD src1_sel:WORD_1
	v_fmac_f16_e32 v4, v6, v2
	v_fma_f16 v2, v2, v3, -v5
	v_cvt_f32_f16_e32 v3, v4
	v_cvt_f32_f16_e32 v4, v2
	v_cvt_f64_f32_e32 v[2:3], v3
	v_cvt_f64_f32_e32 v[4:5], v4
	v_mul_f64 v[2:3], v[2:3], s[8:9]
	v_mul_f64 v[4:5], v[4:5], s[8:9]
	v_and_or_b32 v2, 0x1ff, v3, v2
	v_and_or_b32 v4, 0x1ff, v5, v4
	v_lshrrev_b32_e32 v6, 8, v3
	v_bfe_u32 v12, v3, 20, 11
	v_lshrrev_b32_e32 v10, 8, v5
	v_cmp_ne_u32_e32 vcc_lo, 0, v2
	v_bfe_u32 v13, v5, 20, 11
	v_lshrrev_b32_e32 v5, 16, v5
	v_sub_nc_u32_e32 v11, 0x3f1, v12
	v_cndmask_b32_e64 v2, 0, 1, vcc_lo
	v_cmp_ne_u32_e32 vcc_lo, 0, v4
	v_sub_nc_u32_e32 v14, 0x3f1, v13
	v_add_nc_u32_e32 v13, 0xfffffc10, v13
	v_and_or_b32 v6, 0xffe, v6, v2
	v_cndmask_b32_e64 v4, 0, 1, vcc_lo
	v_med3_i32 v2, v11, 0, 13
	v_med3_i32 v14, v14, 0, 13
	v_or_b32_e32 v15, 0x1000, v6
	v_and_or_b32 v4, 0xffe, v10, v4
	v_mad_u64_u32 v[10:11], null, s4, v41, 0
	v_lshrrev_b32_e32 v17, v2, v15
	v_or_b32_e32 v16, 0x1000, v4
	v_lshlrev_b32_e32 v19, v2, v17
	v_lshrrev_b32_e32 v18, v14, v16
	v_mov_b32_e32 v2, v11
	v_cmp_ne_u32_e32 vcc_lo, v19, v15
	v_lshlrev_b32_e32 v11, v14, v18
	v_add_nc_u32_e32 v14, 0xfffffc10, v12
	v_cndmask_b32_e64 v15, 0, 1, vcc_lo
	v_cmp_ne_u32_e32 vcc_lo, v11, v16
	v_mad_u64_u32 v[11:12], null, s5, v41, v[2:3]
	v_lshl_or_b32 v2, v14, 12, v6
	v_or_b32_e32 v12, v17, v15
	v_cndmask_b32_e64 v16, 0, 1, vcc_lo
	v_cmp_gt_i32_e32 vcc_lo, 1, v14
	v_lshl_or_b32 v15, v13, 12, v4
	v_lshrrev_b32_e32 v3, 16, v3
	v_or_b32_e32 v16, v18, v16
	v_cndmask_b32_e32 v2, v2, v12, vcc_lo
	v_cmp_gt_i32_e32 vcc_lo, 1, v13
	v_cndmask_b32_e32 v12, v15, v16, vcc_lo
	v_cmp_ne_u32_e32 vcc_lo, 0, v6
	v_and_b32_e32 v15, 7, v2
	v_lshrrev_b32_e32 v2, 2, v2
	v_and_b32_e32 v16, 7, v12
	v_cndmask_b32_e64 v6, 0, 1, vcc_lo
	v_cmp_ne_u32_e32 vcc_lo, 0, v4
	v_cmp_eq_u32_e64 s0, 3, v15
	v_lshrrev_b32_e32 v12, 2, v12
	v_cmp_lt_i32_e64 s1, 5, v16
	v_cmp_eq_u32_e64 s2, 3, v16
	v_cndmask_b32_e64 v4, 0, 1, vcc_lo
	v_cmp_lt_i32_e32 vcc_lo, 5, v15
	v_lshl_or_b32 v6, v6, 9, 0x7c00
	v_lshl_or_b32 v4, v4, 9, 0x7c00
	s_or_b32 vcc_lo, s0, vcc_lo
	v_add_co_ci_u32_e32 v2, vcc_lo, 0, v2, vcc_lo
	s_or_b32 vcc_lo, s2, s1
	v_add_co_ci_u32_e32 v12, vcc_lo, 0, v12, vcc_lo
	v_cmp_gt_i32_e32 vcc_lo, 31, v14
	v_cndmask_b32_e32 v2, 0x7c00, v2, vcc_lo
	v_cmp_gt_i32_e32 vcc_lo, 31, v13
	v_cndmask_b32_e32 v12, 0x7c00, v12, vcc_lo
	v_cmp_eq_u32_e32 vcc_lo, 0x40f, v14
	v_cndmask_b32_e32 v2, v2, v6, vcc_lo
	v_cmp_eq_u32_e32 vcc_lo, 0x40f, v13
	v_and_or_b32 v6, 0x8000, v3, v2
	v_cndmask_b32_e32 v4, v12, v4, vcc_lo
	v_lshlrev_b64 v[2:3], 2, v[10:11]
	v_and_or_b32 v4, 0x8000, v5, v4
	v_and_b32_e32 v5, 0xffff, v6
	v_add_co_u32 v2, vcc_lo, v8, v2
	v_add_co_ci_u32_e32 v3, vcc_lo, v9, v3, vcc_lo
	v_lshl_or_b32 v4, v4, 16, v5
	v_lshlrev_b32_e32 v5, 2, v40
	global_store_dword v[2:3], v4, off
	global_load_dword v2, v5, s[12:13]
	v_lshrrev_b32_e32 v3, 16, v7
	s_waitcnt vmcnt(0)
	v_mul_f16_sdwa v4, v3, v2 dst_sel:DWORD dst_unused:UNUSED_PAD src0_sel:DWORD src1_sel:WORD_1
	v_mul_f16_sdwa v5, v7, v2 dst_sel:DWORD dst_unused:UNUSED_PAD src0_sel:DWORD src1_sel:WORD_1
	v_fmac_f16_e32 v4, v7, v2
	v_fma_f16 v2, v2, v3, -v5
	v_cvt_f32_f16_e32 v3, v4
	v_cvt_f32_f16_e32 v4, v2
	v_cvt_f64_f32_e32 v[2:3], v3
	v_cvt_f64_f32_e32 v[4:5], v4
	v_mul_f64 v[2:3], v[2:3], s[8:9]
	v_mul_f64 v[4:5], v[4:5], s[8:9]
	v_and_or_b32 v2, 0x1ff, v3, v2
	v_and_or_b32 v4, 0x1ff, v5, v4
	v_lshrrev_b32_e32 v6, 8, v3
	v_bfe_u32 v10, v3, 20, 11
	v_bfe_u32 v11, v5, 20, 11
	v_cmp_ne_u32_e32 vcc_lo, 0, v2
	v_lshrrev_b32_e32 v7, 8, v5
	v_lshrrev_b32_e32 v5, 16, v5
	v_sub_nc_u32_e32 v12, 0x3f1, v10
	v_sub_nc_u32_e32 v13, 0x3f1, v11
	v_cndmask_b32_e64 v2, 0, 1, vcc_lo
	v_cmp_ne_u32_e32 vcc_lo, 0, v4
	v_add_nc_u32_e32 v19, 0xfffffc10, v11
	v_and_or_b32 v14, 0xffe, v6, v2
	v_cndmask_b32_e64 v4, 0, 1, vcc_lo
	v_med3_i32 v2, v12, 0, 13
	v_med3_i32 v12, v13, 0, 13
	v_or_b32_e32 v13, 0x1000, v14
	v_and_or_b32 v4, 0xffe, v7, v4
	v_mad_u64_u32 v[6:7], null, s4, v40, 0
	v_lshrrev_b32_e32 v16, v2, v13
	v_or_b32_e32 v15, 0x1000, v4
	v_lshlrev_b32_e32 v18, v2, v16
	v_lshrrev_b32_e32 v17, v12, v15
	v_mov_b32_e32 v2, v7
	v_cmp_ne_u32_e32 vcc_lo, v18, v13
	v_lshlrev_b32_e32 v7, v12, v17
	v_add_nc_u32_e32 v12, 0xfffffc10, v10
	v_mad_u64_u32 v[10:11], null, s5, v40, v[2:3]
	v_cndmask_b32_e64 v13, 0, 1, vcc_lo
	v_cmp_ne_u32_e32 vcc_lo, v7, v15
	v_lshl_or_b32 v2, v12, 12, v14
	v_lshrrev_b32_e32 v3, 16, v3
	v_or_b32_e32 v11, v16, v13
	v_cndmask_b32_e64 v7, 0, 1, vcc_lo
	v_cmp_gt_i32_e32 vcc_lo, 1, v12
	v_lshl_or_b32 v13, v19, 12, v4
	v_or_b32_e32 v7, v17, v7
	v_cndmask_b32_e32 v2, v2, v11, vcc_lo
	v_cmp_gt_i32_e32 vcc_lo, 1, v19
	v_cndmask_b32_e32 v7, v13, v7, vcc_lo
	v_cmp_ne_u32_e32 vcc_lo, 0, v14
	v_and_b32_e32 v13, 7, v2
	v_lshrrev_b32_e32 v2, 2, v2
	v_and_b32_e32 v14, 7, v7
	v_cndmask_b32_e64 v11, 0, 1, vcc_lo
	v_cmp_ne_u32_e32 vcc_lo, 0, v4
	v_cmp_eq_u32_e64 s0, 3, v13
	v_lshrrev_b32_e32 v7, 2, v7
	v_cmp_lt_i32_e64 s1, 5, v14
	v_cmp_eq_u32_e64 s2, 3, v14
	v_cndmask_b32_e64 v4, 0, 1, vcc_lo
	v_cmp_lt_i32_e32 vcc_lo, 5, v13
	v_lshl_or_b32 v11, v11, 9, 0x7c00
	v_lshl_or_b32 v4, v4, 9, 0x7c00
	s_or_b32 vcc_lo, s0, vcc_lo
	v_add_co_ci_u32_e32 v2, vcc_lo, 0, v2, vcc_lo
	s_or_b32 vcc_lo, s2, s1
	v_add_co_ci_u32_e32 v7, vcc_lo, 0, v7, vcc_lo
	v_cmp_gt_i32_e32 vcc_lo, 31, v12
	v_cndmask_b32_e32 v2, 0x7c00, v2, vcc_lo
	v_cmp_gt_i32_e32 vcc_lo, 31, v19
	v_cndmask_b32_e32 v13, 0x7c00, v7, vcc_lo
	v_cmp_eq_u32_e32 vcc_lo, 0x40f, v12
	v_mov_b32_e32 v7, v10
	v_cndmask_b32_e32 v2, v2, v11, vcc_lo
	v_cmp_eq_u32_e32 vcc_lo, 0x40f, v19
	v_and_or_b32 v10, 0x8000, v3, v2
	v_cndmask_b32_e32 v4, v13, v4, vcc_lo
	v_lshlrev_b64 v[2:3], 2, v[6:7]
	v_and_or_b32 v4, 0x8000, v5, v4
	v_and_b32_e32 v5, 0xffff, v10
	v_add_co_u32 v2, vcc_lo, v8, v2
	v_add_co_ci_u32_e32 v3, vcc_lo, v9, v3, vcc_lo
	v_lshl_or_b32 v4, v4, 16, v5
	v_lshlrev_b32_e32 v5, 2, v39
	global_store_dword v[2:3], v4, off
	global_load_dword v2, v5, s[12:13]
	s_waitcnt lgkmcnt(0)
	v_lshrrev_b32_e32 v3, 16, v0
	s_waitcnt vmcnt(0)
	v_mul_f16_sdwa v4, v3, v2 dst_sel:DWORD dst_unused:UNUSED_PAD src0_sel:DWORD src1_sel:WORD_1
	v_mul_f16_sdwa v5, v0, v2 dst_sel:DWORD dst_unused:UNUSED_PAD src0_sel:DWORD src1_sel:WORD_1
	v_fmac_f16_e32 v4, v0, v2
	v_fma_f16 v0, v2, v3, -v5
	v_cvt_f32_f16_e32 v2, v4
	v_cvt_f32_f16_e32 v0, v0
	v_cvt_f64_f32_e32 v[2:3], v2
	v_cvt_f64_f32_e32 v[4:5], v0
	v_mul_f64 v[2:3], v[2:3], s[8:9]
	v_mul_f64 v[4:5], v[4:5], s[8:9]
	v_and_or_b32 v0, 0x1ff, v3, v2
	v_and_or_b32 v4, 0x1ff, v5, v4
	v_lshrrev_b32_e32 v2, 8, v3
	v_bfe_u32 v10, v3, 20, 11
	v_lshrrev_b32_e32 v6, 8, v5
	v_cmp_ne_u32_e32 vcc_lo, 0, v0
	v_bfe_u32 v11, v5, 20, 11
	v_lshrrev_b32_e32 v3, 16, v3
	v_sub_nc_u32_e32 v7, 0x3f1, v10
	v_lshrrev_b32_e32 v5, 16, v5
	v_cndmask_b32_e64 v0, 0, 1, vcc_lo
	v_cmp_ne_u32_e32 vcc_lo, 0, v4
	v_sub_nc_u32_e32 v12, 0x3f1, v11
	v_add_nc_u32_e32 v18, 0xfffffc10, v11
	v_and_or_b32 v2, 0xffe, v2, v0
	v_cndmask_b32_e64 v4, 0, 1, vcc_lo
	v_med3_i32 v0, v7, 0, 13
	v_med3_i32 v12, v12, 0, 13
	v_or_b32_e32 v13, 0x1000, v2
	v_and_or_b32 v4, 0xffe, v6, v4
	v_mad_u64_u32 v[6:7], null, s4, v39, 0
	v_lshrrev_b32_e32 v15, v0, v13
	v_or_b32_e32 v14, 0x1000, v4
	v_lshlrev_b32_e32 v17, v0, v15
	v_lshrrev_b32_e32 v16, v12, v14
	v_mov_b32_e32 v0, v7
	v_cmp_ne_u32_e32 vcc_lo, v17, v13
	v_lshlrev_b32_e32 v7, v12, v16
	v_add_nc_u32_e32 v12, 0xfffffc10, v10
	v_mad_u64_u32 v[10:11], null, s5, v39, v[0:1]
	v_cndmask_b32_e64 v13, 0, 1, vcc_lo
	v_cmp_ne_u32_e32 vcc_lo, v7, v14
	v_lshl_or_b32 v0, v12, 12, v2
	v_or_b32_e32 v11, v15, v13
	v_cndmask_b32_e64 v7, 0, 1, vcc_lo
	v_cmp_gt_i32_e32 vcc_lo, 1, v12
	v_lshl_or_b32 v13, v18, 12, v4
	v_or_b32_e32 v7, v16, v7
	v_cndmask_b32_e32 v0, v0, v11, vcc_lo
	v_cmp_gt_i32_e32 vcc_lo, 1, v18
	v_and_b32_e32 v11, 7, v0
	v_cndmask_b32_e32 v7, v13, v7, vcc_lo
	v_cmp_ne_u32_e32 vcc_lo, 0, v2
	v_lshrrev_b32_e32 v0, 2, v0
	v_cmp_eq_u32_e64 s0, 3, v11
	v_and_b32_e32 v13, 7, v7
	v_cndmask_b32_e64 v2, 0, 1, vcc_lo
	v_cmp_ne_u32_e32 vcc_lo, 0, v4
	v_lshrrev_b32_e32 v7, 2, v7
	v_cmp_lt_i32_e64 s1, 5, v13
	v_cmp_eq_u32_e64 s2, 3, v13
	v_cndmask_b32_e64 v4, 0, 1, vcc_lo
	v_cmp_lt_i32_e32 vcc_lo, 5, v11
	v_lshl_or_b32 v2, v2, 9, 0x7c00
	v_lshl_or_b32 v4, v4, 9, 0x7c00
	s_or_b32 vcc_lo, s0, vcc_lo
	v_add_co_ci_u32_e32 v0, vcc_lo, 0, v0, vcc_lo
	s_or_b32 vcc_lo, s2, s1
	v_add_co_ci_u32_e32 v7, vcc_lo, 0, v7, vcc_lo
	v_cmp_gt_i32_e32 vcc_lo, 31, v12
	v_cndmask_b32_e32 v0, 0x7c00, v0, vcc_lo
	v_cmp_gt_i32_e32 vcc_lo, 31, v18
	v_cndmask_b32_e32 v11, 0x7c00, v7, vcc_lo
	v_cmp_eq_u32_e32 vcc_lo, 0x40f, v12
	v_mov_b32_e32 v7, v10
	v_cndmask_b32_e32 v0, v0, v2, vcc_lo
	v_cmp_eq_u32_e32 vcc_lo, 0x40f, v18
	v_and_or_b32 v0, 0x8000, v3, v0
	v_cndmask_b32_e32 v4, v11, v4, vcc_lo
	v_lshlrev_b64 v[2:3], 2, v[6:7]
	v_and_b32_e32 v0, 0xffff, v0
	v_and_or_b32 v4, 0x8000, v5, v4
	v_add_co_u32 v2, vcc_lo, v8, v2
	v_add_co_ci_u32_e32 v3, vcc_lo, v9, v3, vcc_lo
	v_lshl_or_b32 v0, v4, 16, v0
	v_lshlrev_b32_e32 v4, 2, v38
	global_store_dword v[2:3], v0, off
	global_load_dword v0, v4, s[12:13]
	v_lshrrev_b32_e32 v2, 16, v1
	s_waitcnt vmcnt(0)
	v_mul_f16_sdwa v3, v2, v0 dst_sel:DWORD dst_unused:UNUSED_PAD src0_sel:DWORD src1_sel:WORD_1
	v_mul_f16_sdwa v4, v1, v0 dst_sel:DWORD dst_unused:UNUSED_PAD src0_sel:DWORD src1_sel:WORD_1
	v_fmac_f16_e32 v3, v1, v0
	v_fma_f16 v0, v0, v2, -v4
	v_cvt_f32_f16_e32 v1, v3
	v_cvt_f32_f16_e32 v2, v0
	v_cvt_f64_f32_e32 v[0:1], v1
	v_cvt_f64_f32_e32 v[2:3], v2
	v_mul_f64 v[0:1], v[0:1], s[8:9]
	v_mul_f64 v[2:3], v[2:3], s[8:9]
	v_and_or_b32 v0, 0x1ff, v1, v0
	v_and_or_b32 v2, 0x1ff, v3, v2
	v_lshrrev_b32_e32 v4, 8, v1
	v_bfe_u32 v6, v1, 20, 11
	v_bfe_u32 v7, v3, 20, 11
	v_cmp_ne_u32_e32 vcc_lo, 0, v0
	v_lshrrev_b32_e32 v5, 8, v3
	v_lshrrev_b32_e32 v3, 16, v3
	v_sub_nc_u32_e32 v10, 0x3f1, v6
	v_sub_nc_u32_e32 v11, 0x3f1, v7
	v_cndmask_b32_e64 v0, 0, 1, vcc_lo
	v_cmp_ne_u32_e32 vcc_lo, 0, v2
	v_add_nc_u32_e32 v7, 0xfffffc10, v7
	v_and_or_b32 v12, 0xffe, v4, v0
	v_cndmask_b32_e64 v2, 0, 1, vcc_lo
	v_med3_i32 v0, v10, 0, 13
	v_med3_i32 v10, v11, 0, 13
	v_or_b32_e32 v11, 0x1000, v12
	v_and_or_b32 v2, 0xffe, v5, v2
	v_mad_u64_u32 v[4:5], null, s4, v38, 0
	v_lshrrev_b32_e32 v14, v0, v11
	v_or_b32_e32 v13, 0x1000, v2
	v_lshlrev_b32_e32 v16, v0, v14
	v_lshrrev_b32_e32 v15, v10, v13
	v_mov_b32_e32 v0, v5
	v_cmp_ne_u32_e32 vcc_lo, v16, v11
	v_lshlrev_b32_e32 v5, v10, v15
	v_add_nc_u32_e32 v10, 0xfffffc10, v6
	v_cndmask_b32_e64 v11, 0, 1, vcc_lo
	v_cmp_ne_u32_e32 vcc_lo, v5, v13
	v_mad_u64_u32 v[5:6], null, s5, v38, v[0:1]
	v_lshl_or_b32 v0, v10, 12, v12
	v_or_b32_e32 v6, v14, v11
	v_cndmask_b32_e64 v13, 0, 1, vcc_lo
	v_cmp_gt_i32_e32 vcc_lo, 1, v10
	v_lshl_or_b32 v11, v7, 12, v2
	v_lshrrev_b32_e32 v1, 16, v1
	v_or_b32_e32 v13, v15, v13
	v_cndmask_b32_e32 v0, v0, v6, vcc_lo
	v_cmp_gt_i32_e32 vcc_lo, 1, v7
	v_cndmask_b32_e32 v6, v11, v13, vcc_lo
	v_cmp_ne_u32_e32 vcc_lo, 0, v12
	v_and_b32_e32 v12, 7, v0
	v_lshrrev_b32_e32 v0, 2, v0
	v_and_b32_e32 v13, 7, v6
	v_cndmask_b32_e64 v11, 0, 1, vcc_lo
	v_cmp_ne_u32_e32 vcc_lo, 0, v2
	v_cmp_eq_u32_e64 s0, 3, v12
	v_lshrrev_b32_e32 v6, 2, v6
	v_cmp_lt_i32_e64 s1, 5, v13
	v_cmp_eq_u32_e64 s2, 3, v13
	v_cndmask_b32_e64 v2, 0, 1, vcc_lo
	v_cmp_lt_i32_e32 vcc_lo, 5, v12
	v_lshl_or_b32 v11, v11, 9, 0x7c00
	v_lshl_or_b32 v2, v2, 9, 0x7c00
	s_or_b32 vcc_lo, s0, vcc_lo
	v_add_co_ci_u32_e32 v0, vcc_lo, 0, v0, vcc_lo
	s_or_b32 vcc_lo, s2, s1
	v_add_co_ci_u32_e32 v6, vcc_lo, 0, v6, vcc_lo
	v_cmp_gt_i32_e32 vcc_lo, 31, v10
	v_cndmask_b32_e32 v0, 0x7c00, v0, vcc_lo
	v_cmp_gt_i32_e32 vcc_lo, 31, v7
	v_cndmask_b32_e32 v6, 0x7c00, v6, vcc_lo
	v_cmp_eq_u32_e32 vcc_lo, 0x40f, v10
	v_cndmask_b32_e32 v0, v0, v11, vcc_lo
	v_cmp_eq_u32_e32 vcc_lo, 0x40f, v7
	v_and_or_b32 v0, 0x8000, v1, v0
	v_cndmask_b32_e32 v2, v6, v2, vcc_lo
	v_and_or_b32 v2, 0x8000, v3, v2
	v_and_b32_e32 v3, 0xffff, v0
	v_lshlrev_b64 v[0:1], 2, v[4:5]
	v_lshl_or_b32 v2, v2, 16, v3
	v_add_co_u32 v0, vcc_lo, v8, v0
	v_add_co_ci_u32_e32 v1, vcc_lo, v9, v1, vcc_lo
	global_store_dword v[0:1], v2, off
.LBB0_15:
	s_endpgm
	.section	.rodata,"a",@progbits
	.p2align	6, 0x0
	.amdhsa_kernel bluestein_single_back_len1088_dim1_half_op_CI_CI
		.amdhsa_group_segment_fixed_size 13056
		.amdhsa_private_segment_fixed_size 0
		.amdhsa_kernarg_size 104
		.amdhsa_user_sgpr_count 6
		.amdhsa_user_sgpr_private_segment_buffer 1
		.amdhsa_user_sgpr_dispatch_ptr 0
		.amdhsa_user_sgpr_queue_ptr 0
		.amdhsa_user_sgpr_kernarg_segment_ptr 1
		.amdhsa_user_sgpr_dispatch_id 0
		.amdhsa_user_sgpr_flat_scratch_init 0
		.amdhsa_user_sgpr_private_segment_size 0
		.amdhsa_wavefront_size32 1
		.amdhsa_uses_dynamic_stack 0
		.amdhsa_system_sgpr_private_segment_wavefront_offset 0
		.amdhsa_system_sgpr_workgroup_id_x 1
		.amdhsa_system_sgpr_workgroup_id_y 0
		.amdhsa_system_sgpr_workgroup_id_z 0
		.amdhsa_system_sgpr_workgroup_info 0
		.amdhsa_system_vgpr_workitem_id 0
		.amdhsa_next_free_vgpr 246
		.amdhsa_next_free_sgpr 16
		.amdhsa_reserve_vcc 1
		.amdhsa_reserve_flat_scratch 0
		.amdhsa_float_round_mode_32 0
		.amdhsa_float_round_mode_16_64 0
		.amdhsa_float_denorm_mode_32 3
		.amdhsa_float_denorm_mode_16_64 3
		.amdhsa_dx10_clamp 1
		.amdhsa_ieee_mode 1
		.amdhsa_fp16_overflow 0
		.amdhsa_workgroup_processor_mode 1
		.amdhsa_memory_ordered 1
		.amdhsa_forward_progress 0
		.amdhsa_shared_vgpr_count 0
		.amdhsa_exception_fp_ieee_invalid_op 0
		.amdhsa_exception_fp_denorm_src 0
		.amdhsa_exception_fp_ieee_div_zero 0
		.amdhsa_exception_fp_ieee_overflow 0
		.amdhsa_exception_fp_ieee_underflow 0
		.amdhsa_exception_fp_ieee_inexact 0
		.amdhsa_exception_int_div_zero 0
	.end_amdhsa_kernel
	.text
.Lfunc_end0:
	.size	bluestein_single_back_len1088_dim1_half_op_CI_CI, .Lfunc_end0-bluestein_single_back_len1088_dim1_half_op_CI_CI
                                        ; -- End function
	.section	.AMDGPU.csdata,"",@progbits
; Kernel info:
; codeLenInByte = 32280
; NumSgprs: 18
; NumVgprs: 246
; ScratchSize: 0
; MemoryBound: 0
; FloatMode: 240
; IeeeMode: 1
; LDSByteSize: 13056 bytes/workgroup (compile time only)
; SGPRBlocks: 2
; VGPRBlocks: 30
; NumSGPRsForWavesPerEU: 18
; NumVGPRsForWavesPerEU: 246
; Occupancy: 4
; WaveLimiterHint : 1
; COMPUTE_PGM_RSRC2:SCRATCH_EN: 0
; COMPUTE_PGM_RSRC2:USER_SGPR: 6
; COMPUTE_PGM_RSRC2:TRAP_HANDLER: 0
; COMPUTE_PGM_RSRC2:TGID_X_EN: 1
; COMPUTE_PGM_RSRC2:TGID_Y_EN: 0
; COMPUTE_PGM_RSRC2:TGID_Z_EN: 0
; COMPUTE_PGM_RSRC2:TIDIG_COMP_CNT: 0
	.text
	.p2alignl 6, 3214868480
	.fill 48, 4, 3214868480
	.type	__hip_cuid_263bc897b0cbad50,@object ; @__hip_cuid_263bc897b0cbad50
	.section	.bss,"aw",@nobits
	.globl	__hip_cuid_263bc897b0cbad50
__hip_cuid_263bc897b0cbad50:
	.byte	0                               ; 0x0
	.size	__hip_cuid_263bc897b0cbad50, 1

	.ident	"AMD clang version 19.0.0git (https://github.com/RadeonOpenCompute/llvm-project roc-6.4.0 25133 c7fe45cf4b819c5991fe208aaa96edf142730f1d)"
	.section	".note.GNU-stack","",@progbits
	.addrsig
	.addrsig_sym __hip_cuid_263bc897b0cbad50
	.amdgpu_metadata
---
amdhsa.kernels:
  - .args:
      - .actual_access:  read_only
        .address_space:  global
        .offset:         0
        .size:           8
        .value_kind:     global_buffer
      - .actual_access:  read_only
        .address_space:  global
        .offset:         8
        .size:           8
        .value_kind:     global_buffer
      - .actual_access:  read_only
        .address_space:  global
        .offset:         16
        .size:           8
        .value_kind:     global_buffer
      - .actual_access:  read_only
        .address_space:  global
        .offset:         24
        .size:           8
        .value_kind:     global_buffer
      - .actual_access:  read_only
        .address_space:  global
        .offset:         32
        .size:           8
        .value_kind:     global_buffer
      - .offset:         40
        .size:           8
        .value_kind:     by_value
      - .address_space:  global
        .offset:         48
        .size:           8
        .value_kind:     global_buffer
      - .address_space:  global
        .offset:         56
        .size:           8
        .value_kind:     global_buffer
      - .address_space:  global
        .offset:         64
        .size:           8
        .value_kind:     global_buffer
      - .address_space:  global
        .offset:         72
        .size:           8
        .value_kind:     global_buffer
      - .offset:         80
        .size:           4
        .value_kind:     by_value
      - .address_space:  global
        .offset:         88
        .size:           8
        .value_kind:     global_buffer
      - .address_space:  global
        .offset:         96
        .size:           8
        .value_kind:     global_buffer
    .group_segment_fixed_size: 13056
    .kernarg_segment_align: 8
    .kernarg_segment_size: 104
    .language:       OpenCL C
    .language_version:
      - 2
      - 0
    .max_flat_workgroup_size: 204
    .name:           bluestein_single_back_len1088_dim1_half_op_CI_CI
    .private_segment_fixed_size: 0
    .sgpr_count:     18
    .sgpr_spill_count: 0
    .symbol:         bluestein_single_back_len1088_dim1_half_op_CI_CI.kd
    .uniform_work_group_size: 1
    .uses_dynamic_stack: false
    .vgpr_count:     246
    .vgpr_spill_count: 0
    .wavefront_size: 32
    .workgroup_processor_mode: 1
amdhsa.target:   amdgcn-amd-amdhsa--gfx1030
amdhsa.version:
  - 1
  - 2
...

	.end_amdgpu_metadata
